;; amdgpu-corpus repo=ROCm/rocFFT kind=compiled arch=gfx950 opt=O3
	.text
	.amdgcn_target "amdgcn-amd-amdhsa--gfx950"
	.amdhsa_code_object_version 6
	.protected	fft_rtc_fwd_len2040_factors_17_4_3_10_wgs_170_tpt_170_halfLds_sp_op_CI_CI_unitstride_sbrr_dirReg ; -- Begin function fft_rtc_fwd_len2040_factors_17_4_3_10_wgs_170_tpt_170_halfLds_sp_op_CI_CI_unitstride_sbrr_dirReg
	.globl	fft_rtc_fwd_len2040_factors_17_4_3_10_wgs_170_tpt_170_halfLds_sp_op_CI_CI_unitstride_sbrr_dirReg
	.p2align	8
	.type	fft_rtc_fwd_len2040_factors_17_4_3_10_wgs_170_tpt_170_halfLds_sp_op_CI_CI_unitstride_sbrr_dirReg,@function
fft_rtc_fwd_len2040_factors_17_4_3_10_wgs_170_tpt_170_halfLds_sp_op_CI_CI_unitstride_sbrr_dirReg: ; @fft_rtc_fwd_len2040_factors_17_4_3_10_wgs_170_tpt_170_halfLds_sp_op_CI_CI_unitstride_sbrr_dirReg
; %bb.0:
	s_load_dwordx4 s[8:11], s[0:1], 0x58
	s_load_dwordx4 s[4:7], s[0:1], 0x0
	;; [unrolled: 1-line block ×3, first 2 shown]
	v_mul_u32_u24_e32 v1, 0x182, v0
	v_add_u32_sdwa v10, s2, v1 dst_sel:DWORD dst_unused:UNUSED_PAD src0_sel:DWORD src1_sel:WORD_1
	v_mov_b32_e32 v8, 0
	s_waitcnt lgkmcnt(0)
	v_cmp_lt_u64_e64 s[2:3], s[6:7], 2
	v_mov_b32_e32 v11, v8
	s_and_b64 vcc, exec, s[2:3]
	v_mov_b64_e32 v[6:7], 0
	s_cbranch_vccnz .LBB0_8
; %bb.1:
	s_load_dwordx2 s[2:3], s[0:1], 0x10
	s_add_u32 s16, s14, 8
	s_addc_u32 s17, s15, 0
	s_add_u32 s18, s12, 8
	s_addc_u32 s19, s13, 0
	s_waitcnt lgkmcnt(0)
	s_add_u32 s20, s2, 8
	v_mov_b64_e32 v[6:7], 0
	s_addc_u32 s21, s3, 0
	s_mov_b64 s[22:23], 1
	v_mov_b64_e32 v[2:3], v[6:7]
.LBB0_2:                                ; =>This Inner Loop Header: Depth=1
	s_load_dwordx2 s[24:25], s[20:21], 0x0
                                        ; implicit-def: $vgpr4_vgpr5
	s_waitcnt lgkmcnt(0)
	v_or_b32_e32 v9, s25, v11
	v_cmp_ne_u64_e32 vcc, 0, v[8:9]
	s_and_saveexec_b64 s[2:3], vcc
	s_xor_b64 s[26:27], exec, s[2:3]
	s_cbranch_execz .LBB0_4
; %bb.3:                                ;   in Loop: Header=BB0_2 Depth=1
	v_cvt_f32_u32_e32 v1, s24
	v_cvt_f32_u32_e32 v4, s25
	s_sub_u32 s2, 0, s24
	s_subb_u32 s3, 0, s25
	v_fmac_f32_e32 v1, 0x4f800000, v4
	v_rcp_f32_e32 v1, v1
	s_nop 0
	v_mul_f32_e32 v1, 0x5f7ffffc, v1
	v_mul_f32_e32 v4, 0x2f800000, v1
	v_trunc_f32_e32 v4, v4
	v_fmac_f32_e32 v1, 0xcf800000, v4
	v_cvt_u32_f32_e32 v9, v4
	v_cvt_u32_f32_e32 v1, v1
	v_mul_lo_u32 v4, s2, v9
	v_mul_hi_u32 v12, s2, v1
	v_mul_lo_u32 v5, s3, v1
	v_add_u32_e32 v12, v12, v4
	v_mul_lo_u32 v14, s2, v1
	v_add_u32_e32 v15, v12, v5
	v_mul_hi_u32 v4, v1, v14
	v_mul_hi_u32 v13, v1, v15
	v_mul_lo_u32 v12, v1, v15
	v_mov_b32_e32 v5, v8
	v_lshl_add_u64 v[4:5], v[4:5], 0, v[12:13]
	v_mul_hi_u32 v13, v9, v14
	v_mul_lo_u32 v14, v9, v14
	v_add_co_u32_e32 v4, vcc, v4, v14
	v_mul_hi_u32 v12, v9, v15
	s_nop 0
	v_addc_co_u32_e32 v4, vcc, v5, v13, vcc
	v_mov_b32_e32 v5, v8
	s_nop 0
	v_addc_co_u32_e32 v13, vcc, 0, v12, vcc
	v_mul_lo_u32 v12, v9, v15
	v_lshl_add_u64 v[4:5], v[4:5], 0, v[12:13]
	v_add_co_u32_e32 v1, vcc, v1, v4
	v_mul_lo_u32 v12, s2, v1
	s_nop 0
	v_addc_co_u32_e32 v9, vcc, v9, v5, vcc
	v_mul_lo_u32 v4, s2, v9
	v_mul_hi_u32 v5, s2, v1
	v_add_u32_e32 v4, v5, v4
	v_mul_lo_u32 v5, s3, v1
	v_add_u32_e32 v14, v4, v5
	v_mul_hi_u32 v16, v9, v12
	v_mul_lo_u32 v17, v9, v12
	v_mul_hi_u32 v5, v1, v14
	v_mul_lo_u32 v4, v1, v14
	v_mul_hi_u32 v12, v1, v12
	v_mov_b32_e32 v13, v8
	v_lshl_add_u64 v[4:5], v[12:13], 0, v[4:5]
	v_add_co_u32_e32 v4, vcc, v4, v17
	v_mul_hi_u32 v15, v9, v14
	s_nop 0
	v_addc_co_u32_e32 v4, vcc, v5, v16, vcc
	v_mul_lo_u32 v12, v9, v14
	s_nop 0
	v_addc_co_u32_e32 v13, vcc, 0, v15, vcc
	v_mov_b32_e32 v5, v8
	v_lshl_add_u64 v[4:5], v[4:5], 0, v[12:13]
	v_add_co_u32_e32 v1, vcc, v1, v4
	v_mul_hi_u32 v12, v10, v1
	s_nop 0
	v_addc_co_u32_e32 v9, vcc, v9, v5, vcc
	v_mad_u64_u32 v[4:5], s[2:3], v10, v9, 0
	v_mov_b32_e32 v13, v8
	v_lshl_add_u64 v[4:5], v[12:13], 0, v[4:5]
	v_mad_u64_u32 v[14:15], s[2:3], v11, v1, 0
	v_add_co_u32_e32 v1, vcc, v4, v14
	v_mad_u64_u32 v[12:13], s[2:3], v11, v9, 0
	s_nop 0
	v_addc_co_u32_e32 v4, vcc, v5, v15, vcc
	v_mov_b32_e32 v5, v8
	s_nop 0
	v_addc_co_u32_e32 v13, vcc, 0, v13, vcc
	v_lshl_add_u64 v[4:5], v[4:5], 0, v[12:13]
	v_mul_lo_u32 v1, s25, v4
	v_mul_lo_u32 v9, s24, v5
	v_mad_u64_u32 v[12:13], s[2:3], s24, v4, 0
	v_add3_u32 v1, v13, v9, v1
	v_sub_u32_e32 v9, v11, v1
	v_mov_b32_e32 v13, s25
	v_sub_co_u32_e32 v16, vcc, v10, v12
	v_lshl_add_u64 v[14:15], v[4:5], 0, 1
	s_nop 0
	v_subb_co_u32_e64 v9, s[2:3], v9, v13, vcc
	v_subrev_co_u32_e64 v12, s[2:3], s24, v16
	v_subb_co_u32_e32 v1, vcc, v11, v1, vcc
	s_nop 0
	v_subbrev_co_u32_e64 v9, s[2:3], 0, v9, s[2:3]
	v_cmp_le_u32_e64 s[2:3], s25, v9
	v_cmp_le_u32_e32 vcc, s25, v1
	s_nop 0
	v_cndmask_b32_e64 v13, 0, -1, s[2:3]
	v_cmp_le_u32_e64 s[2:3], s24, v12
	s_nop 1
	v_cndmask_b32_e64 v12, 0, -1, s[2:3]
	v_cmp_eq_u32_e64 s[2:3], s25, v9
	s_nop 1
	v_cndmask_b32_e64 v9, v13, v12, s[2:3]
	v_lshl_add_u64 v[12:13], v[4:5], 0, 2
	v_cmp_ne_u32_e64 s[2:3], 0, v9
	s_nop 1
	v_cndmask_b32_e64 v9, v15, v13, s[2:3]
	v_cndmask_b32_e64 v13, 0, -1, vcc
	v_cmp_le_u32_e32 vcc, s24, v16
	s_nop 1
	v_cndmask_b32_e64 v15, 0, -1, vcc
	v_cmp_eq_u32_e32 vcc, s25, v1
	s_nop 1
	v_cndmask_b32_e32 v1, v13, v15, vcc
	v_cmp_ne_u32_e32 vcc, 0, v1
	v_cndmask_b32_e64 v1, v14, v12, s[2:3]
	s_nop 0
	v_cndmask_b32_e32 v5, v5, v9, vcc
	v_cndmask_b32_e32 v4, v4, v1, vcc
.LBB0_4:                                ;   in Loop: Header=BB0_2 Depth=1
	s_andn2_saveexec_b64 s[2:3], s[26:27]
	s_cbranch_execz .LBB0_6
; %bb.5:                                ;   in Loop: Header=BB0_2 Depth=1
	v_cvt_f32_u32_e32 v1, s24
	s_sub_i32 s26, 0, s24
	v_rcp_iflag_f32_e32 v1, v1
	s_nop 0
	v_mul_f32_e32 v1, 0x4f7ffffe, v1
	v_cvt_u32_f32_e32 v1, v1
	v_mul_lo_u32 v4, s26, v1
	v_mul_hi_u32 v4, v1, v4
	v_add_u32_e32 v1, v1, v4
	v_mul_hi_u32 v1, v10, v1
	v_mul_lo_u32 v4, v1, s24
	v_sub_u32_e32 v4, v10, v4
	v_add_u32_e32 v5, 1, v1
	v_subrev_u32_e32 v9, s24, v4
	v_cmp_le_u32_e32 vcc, s24, v4
	s_nop 1
	v_cndmask_b32_e32 v4, v4, v9, vcc
	v_cndmask_b32_e32 v1, v1, v5, vcc
	v_add_u32_e32 v5, 1, v1
	v_cmp_le_u32_e32 vcc, s24, v4
	s_nop 1
	v_cndmask_b32_e32 v4, v1, v5, vcc
	v_mov_b32_e32 v5, v8
.LBB0_6:                                ;   in Loop: Header=BB0_2 Depth=1
	s_or_b64 exec, exec, s[2:3]
	v_mad_u64_u32 v[12:13], s[2:3], v4, s24, 0
	s_load_dwordx2 s[2:3], s[18:19], 0x0
	v_mul_lo_u32 v1, v5, s24
	v_mul_lo_u32 v9, v4, s25
	s_load_dwordx2 s[24:25], s[16:17], 0x0
	s_add_u32 s22, s22, 1
	v_add3_u32 v1, v13, v9, v1
	v_sub_co_u32_e32 v9, vcc, v10, v12
	s_addc_u32 s23, s23, 0
	s_nop 0
	v_subb_co_u32_e32 v1, vcc, v11, v1, vcc
	s_add_u32 s16, s16, 8
	s_waitcnt lgkmcnt(0)
	v_mul_lo_u32 v10, s2, v1
	v_mul_lo_u32 v11, s3, v9
	v_mad_u64_u32 v[6:7], s[2:3], s2, v9, v[6:7]
	s_addc_u32 s17, s17, 0
	v_add3_u32 v7, v11, v7, v10
	v_mul_lo_u32 v1, s24, v1
	v_mul_lo_u32 v10, s25, v9
	v_mad_u64_u32 v[2:3], s[2:3], s24, v9, v[2:3]
	s_add_u32 s18, s18, 8
	v_add3_u32 v3, v10, v3, v1
	s_addc_u32 s19, s19, 0
	v_mov_b64_e32 v[10:11], s[6:7]
	s_add_u32 s20, s20, 8
	v_cmp_ge_u64_e32 vcc, s[22:23], v[10:11]
	s_addc_u32 s21, s21, 0
	s_cbranch_vccnz .LBB0_9
; %bb.7:                                ;   in Loop: Header=BB0_2 Depth=1
	v_mov_b64_e32 v[10:11], v[4:5]
	s_branch .LBB0_2
.LBB0_8:
	v_mov_b64_e32 v[2:3], v[6:7]
	v_mov_b64_e32 v[4:5], v[10:11]
.LBB0_9:
	s_load_dwordx2 s[0:1], s[0:1], 0x28
	s_mov_b32 s16, 0x1818182
	v_mul_hi_u32 v1, v0, s16
	v_mul_u32_u24_e32 v1, 0xaa, v1
	s_lshl_b64 s[2:3], s[6:7], 3
	s_waitcnt lgkmcnt(0)
	v_cmp_gt_u64_e32 vcc, s[0:1], v[4:5]
	v_sub_u32_e32 v0, v0, v1
	s_movk_i32 s0, 0x78
	s_add_u32 s6, s14, s2
	v_cmp_gt_u32_e64 s[0:1], s0, v0
	s_addc_u32 s7, s15, s3
	s_and_b64 s[16:17], vcc, s[0:1]
	v_mov_b32_e32 v35, 0
	v_mov_b32_e32 v13, 0
                                        ; implicit-def: $vgpr38
                                        ; implicit-def: $vgpr44
                                        ; implicit-def: $vgpr40
                                        ; implicit-def: $vgpr46
                                        ; implicit-def: $vgpr50
                                        ; implicit-def: $vgpr48
                                        ; implicit-def: $vgpr42
                                        ; implicit-def: $vgpr30
                                        ; implicit-def: $vgpr22
                                        ; implicit-def: $vgpr18
                                        ; implicit-def: $vgpr20
                                        ; implicit-def: $vgpr24
                                        ; implicit-def: $vgpr28
                                        ; implicit-def: $vgpr32
                                        ; implicit-def: $vgpr26
	s_and_saveexec_b64 s[14:15], s[16:17]
	s_cbranch_execz .LBB0_11
; %bb.10:
	s_add_u32 s2, s12, s2
	s_addc_u32 s3, s13, s3
	s_load_dwordx2 s[2:3], s[2:3], 0x0
	v_mov_b32_e32 v1, 0
	s_waitcnt lgkmcnt(0)
	v_mul_lo_u32 v10, s3, v4
	v_mul_lo_u32 v11, s2, v5
	v_mad_u64_u32 v[8:9], s[2:3], s2, v4, 0
	v_add3_u32 v9, v9, v11, v10
	v_lshl_add_u64 v[8:9], v[8:9], 3, s[8:9]
	v_lshl_add_u64 v[6:7], v[6:7], 3, v[8:9]
	;; [unrolled: 1-line block ×3, first 2 shown]
	s_movk_i32 s2, 0x1000
	v_add_co_u32_e64 v14, s[2:3], s2, v8
	global_load_dwordx2 v[10:11], v[8:9], off
	global_load_dwordx2 v[38:39], v[8:9], off offset:960
	global_load_dwordx2 v[44:45], v[8:9], off offset:1920
	;; [unrolled: 1-line block ×3, first 2 shown]
	v_addc_co_u32_e64 v15, s[2:3], 0, v9, s[2:3]
	s_movk_i32 s2, 0x2000
	s_nop 0
	v_add_co_u32_e64 v16, s[2:3], s2, v8
	global_load_dwordx2 v[46:47], v[8:9], off offset:3840
	global_load_dwordx2 v[50:51], v[14:15], off offset:704
	;; [unrolled: 1-line block ×4, first 2 shown]
	v_addc_co_u32_e64 v17, s[2:3], 0, v9, s[2:3]
	global_load_dwordx2 v[30:31], v[14:15], off offset:3584
	global_load_dwordx2 v[12:13], v[16:17], off offset:448
	;; [unrolled: 1-line block ×4, first 2 shown]
	s_movk_i32 s2, 0x3000
	v_or_b32_e32 v14, 0x780, v0
	v_mov_b32_e32 v15, v1
	v_add_co_u32_e64 v8, s[2:3], s2, v8
	v_lshl_add_u64 v[6:7], v[14:15], 3, v[6:7]
	s_nop 0
	v_addc_co_u32_e64 v9, s[2:3], 0, v9, s[2:3]
	global_load_dwordx2 v[18:19], v[6:7], off
	global_load_dwordx2 v[32:33], v[16:17], off offset:3328
	global_load_dwordx2 v[28:29], v[8:9], off offset:192
	;; [unrolled: 1-line block ×4, first 2 shown]
	s_waitcnt vmcnt(16)
	v_mov_b32_e32 v35, v11
	s_waitcnt vmcnt(7)
	v_mov_b32_e32 v34, v13
	v_mov_b32_e32 v13, v10
.LBB0_11:
	s_or_b64 exec, exec, s[14:15]
	s_mov_b32 s40, 0x3f3d2fb0
	s_waitcnt vmcnt(4)
	v_pk_add_f32 v[14:15], v[38:39], v[18:19]
	s_mov_b32 s41, 0x3f6eb680
	s_mov_b32 s44, 0xbf2c7751
	v_pk_add_f32 v[60:61], v[38:39], v[18:19] neg_lo:[0,1] neg_hi:[0,1]
	s_waitcnt vmcnt(0)
	v_pk_add_f32 v[16:17], v[44:45], v[20:21]
	s_mov_b32 s2, 0xbf1a4643
	s_mov_b32 s38, 0x3dbcf732
	;; [unrolled: 1-line block ×3, first 2 shown]
	v_pk_mul_f32 v[102:103], v[14:15], s[40:41] op_sel_hi:[0,1]
	s_mov_b32 s39, s40
	v_pk_add_f32 v[62:63], v[44:45], v[20:21] neg_lo:[0,1] neg_hi:[0,1]
	v_pk_add_f32 v[54:55], v[40:41], v[24:25]
	s_mov_b32 s3, 0x3ee437d1
	s_mov_b32 s42, 0xbf4c4adb
	v_pk_fma_f32 v[6:7], v[60:61], s[44:45], v[102:103] op_sel:[1,0,0]
	v_mov_b32_e32 v8, v13
	v_pk_mul_f32 v[104:105], v[16:17], s[38:39] op_sel_hi:[0,1]
	s_mov_b32 s46, 0xbf7ee86f
	s_mov_b32 s47, s44
	v_pk_add_f32 v[64:65], v[40:41], v[24:25] neg_lo:[0,1] neg_hi:[0,1]
	v_pk_add_f32 v[56:57], v[46:47], v[28:29]
	s_mov_b32 s43, 0xbf65296c
	v_pk_add_f32 v[6:7], v[8:9], v[6:7] op_sel_hi:[0,1]
	v_pk_fma_f32 v[10:11], v[62:63], s[46:47], v[104:105] op_sel:[1,0,0]
	v_pk_mul_f32 v[106:107], v[54:55], s[2:3] op_sel_hi:[0,1]
	s_mov_b32 s8, 0xbf7ba420
	s_mov_b32 s9, s38
	;; [unrolled: 1-line block ×3, first 2 shown]
	v_pk_add_f32 v[6:7], v[6:7], v[10:11]
	v_pk_fma_f32 v[10:11], v[64:65], s[42:43], v[106:107] op_sel:[1,0,0]
	v_pk_add_f32 v[72:73], v[46:47], v[28:29] neg_lo:[0,1] neg_hi:[0,1]
	s_mov_b32 s48, 0xbe3c28d5
	s_mov_b32 s49, s46
	v_pk_mul_f32 v[108:109], v[56:57], s[8:9] op_sel_hi:[0,1]
	s_mov_b32 s13, 0xbe8c1d8e
	s_mov_b32 s50, 0x3f06c442
	v_pk_add_f32 v[66:67], v[50:51], v[32:33]
	v_pk_add_f32 v[6:7], v[6:7], v[10:11]
	v_pk_fma_f32 v[10:11], v[72:73], s[48:49], v[108:109] op_sel:[1,0,0]
	s_mov_b32 s51, 0xbf763a35
	v_pk_add_f32 v[74:75], v[50:51], v[32:33] neg_lo:[0,1] neg_hi:[0,1]
	v_pk_mul_f32 v[110:111], v[66:67], s[12:13] op_sel_hi:[0,1]
	s_mov_b32 s16, s13
	s_mov_b32 s17, s2
	v_pk_add_f32 v[68:69], v[48:49], v[26:27]
	v_pk_add_f32 v[6:7], v[6:7], v[10:11]
	v_pk_fma_f32 v[10:11], v[74:75], s[50:51], v[110:111] op_sel:[1,0,0]
	s_mov_b32 s52, 0x3f763a35
	s_mov_b32 s53, s42
	v_pk_add_f32 v[76:77], v[48:49], v[26:27] neg_lo:[0,1] neg_hi:[0,1]
	v_pk_mul_f32 v[112:113], v[68:69], s[16:17] op_sel_hi:[0,1]
	s_mov_b32 s20, s3
	s_mov_b32 s21, s12
	;; [unrolled: 1-line block ×3, first 2 shown]
	v_pk_add_f32 v[52:53], v[42:43], v[22:23]
	v_pk_add_f32 v[6:7], v[6:7], v[10:11]
	v_pk_fma_f32 v[10:11], v[76:77], s[52:53], v[112:113] op_sel:[1,0,0]
	s_mov_b32 s55, 0xbf06c442
	v_pk_add_f32 v[36:37], v[42:43], v[22:23] neg_lo:[0,1] neg_hi:[0,1]
	v_pk_mul_f32 v[114:115], v[52:53], s[20:21] op_sel_hi:[0,1]
	v_pk_add_f32 v[6:7], v[6:7], v[10:11]
	v_pk_fma_f32 v[10:11], v[36:37], s[54:55], v[114:115] op_sel:[1,0,0]
	s_mov_b32 s14, s41
	v_pk_add_f32 v[6:7], v[10:11], v[6:7]
	v_mov_b32_e32 v10, v31
	s_mov_b32 s15, s8
	v_pk_add_f32 v[70:71], v[30:31], v[12:13]
	v_pk_add_f32 v[84:85], v[10:11], v[34:35] op_sel_hi:[0,1] neg_lo:[0,1] neg_hi:[0,1]
	s_mov_b32 s56, 0x3eb8f4ab
	s_mov_b32 s57, s48
	v_pk_mul_f32 v[116:117], v[70:71], s[14:15] op_sel_hi:[0,1]
	s_mov_b32 s18, s38
	s_mov_b32 s19, s3
	v_pk_fma_f32 v[10:11], v[84:85], s[56:57], v[116:117] op_sel_hi:[0,1,1]
	s_mov_b32 s58, s46
	s_mov_b32 s59, s43
	v_pk_mul_f32 v[100:101], v[14:15], s[18:19] op_sel_hi:[0,1]
	s_mov_b32 s22, s8
	s_mov_b32 s23, s2
	v_pk_add_f32 v[6:7], v[10:11], v[6:7]
	v_pk_fma_f32 v[10:11], v[60:61], s[58:59], v[100:101] op_sel:[1,0,0]
	s_mov_b32 s60, s48
	s_mov_b32 s61, s42
	v_pk_mul_f32 v[98:99], v[16:17], s[22:23] op_sel_hi:[0,1]
	s_mov_b32 s24, s13
	s_mov_b32 s25, s8
	v_pk_add_f32 v[8:9], v[8:9], v[10:11] op_sel_hi:[0,1]
	v_pk_fma_f32 v[10:11], v[62:63], s[60:61], v[98:99] op_sel:[1,0,0]
	s_mov_b32 s63, 0x3e3c28d5
	s_mov_b32 s62, s52
	v_pk_mul_f32 v[96:97], v[54:55], s[24:25] op_sel_hi:[0,1]
	s_mov_b32 s26, s41
	s_mov_b32 s27, s13
	v_pk_add_f32 v[8:9], v[8:9], v[10:11]
	v_pk_fma_f32 v[10:11], v[64:65], s[62:63], v[96:97] op_sel:[1,0,0]
	s_mov_b32 s64, s56
	s_mov_b32 s65, s52
	v_pk_mul_f32 v[94:95], v[56:57], s[26:27] op_sel_hi:[0,1]
	s_mov_b32 s28, s3
	s_mov_b32 s29, s40
	v_pk_add_f32 v[8:9], v[8:9], v[10:11]
	;; [unrolled: 7-line block ×5, first 2 shown]
	v_pk_fma_f32 v[10:11], v[36:37], s[70:71], v[86:87] op_sel:[1,0,0]
	s_mov_b32 s72, s67
	s_mov_b32 s73, s55
	v_pk_mul_f32 v[88:89], v[70:71], s[36:37] op_sel_hi:[0,1]
	v_mul_f32_e32 v97, 0xbe8c1d8e, v14
	v_pk_add_f32 v[8:9], v[10:11], v[8:9]
	v_pk_fma_f32 v[10:11], v[84:85], s[72:73], v[88:89] op_sel_hi:[0,1,1]
	v_fmamk_f32 v1, v61, 0xbf763a35, v97
	v_mul_f32_e32 v95, 0xbf59a7d5, v16
	v_pk_add_f32 v[8:9], v[10:11], v[8:9]
	v_add_f32_e32 v1, v13, v1
	v_fmamk_f32 v10, v63, 0x3f06c442, v95
	v_mul_f32_e32 v93, 0x3f3d2fb0, v54
	v_add_f32_e32 v1, v1, v10
	v_fmamk_f32 v10, v65, 0x3f2c7751, v93
	v_mul_f32_e32 v91, 0x3ee437d1, v56
	;; [unrolled: 3-line block ×3, first 2 shown]
	v_add_f32_e32 v1, v1, v10
	v_fmamk_f32 v10, v75, 0xbe3c28d5, v87
	v_add_f32_e32 v1, v1, v10
	v_mul_f32_e32 v10, 0x3dbcf732, v68
	v_fmamk_f32 v11, v77, 0x3f7ee86f, v10
	v_add_f32_e32 v11, v1, v11
	v_mul_f32_e32 v1, 0x3f6eb680, v52
	v_fmamk_f32 v15, v37, 0xbeb8f4ab, v1
	v_mul_f32_e32 v89, 0xbf1a4643, v70
	v_add_f32_e32 v11, v15, v11
	v_fmamk_f32 v15, v84, 0xbf4c4adb, v89
	s_mov_b32 s75, 0x3f7ee86f
	v_mov_b32_e32 v58, v31
	v_mov_b32_e32 v59, v31
	v_add_f32_e32 v11, v15, v11
	s_and_saveexec_b64 s[76:77], s[0:1]
	s_cbranch_execz .LBB0_13
; %bb.12:
	v_pk_mul_f32 v[118:119], v[60:61], s[44:45] op_sel:[1,0]
	s_movk_i32 s33, 0x44
	v_pk_add_f32 v[102:103], v[102:103], v[118:119] neg_lo:[0,1] neg_hi:[0,1]
	v_pk_mul_f32 v[118:119], v[62:63], s[46:47] op_sel:[1,0]
	v_mov_b32_e32 v102, v13
	v_pk_add_f32 v[104:105], v[104:105], v[118:119] neg_lo:[0,1] neg_hi:[0,1]
	v_pk_mul_f32 v[118:119], v[64:65], s[42:43] op_sel:[1,0]
	v_mov_b32_e32 v104, v22
	;; [unrolled: 3-line block ×6, first 2 shown]
	v_pk_add_f32 v[114:115], v[114:115], v[118:119] neg_lo:[0,1] neg_hi:[0,1]
	v_pk_mul_f32 v[118:119], v[84:85], s[56:57] op_sel_hi:[0,1]
	v_pk_add_f32 v[116:117], v[116:117], v[118:119] neg_lo:[0,1] neg_hi:[0,1]
	v_pk_add_f32 v[118:119], v[102:103], v[38:39]
	v_mov_b32_e32 v114, v20
	v_pk_add_f32 v[118:119], v[118:119], v[44:45]
	v_mov_b32_e32 v116, v18
	;; [unrolled: 2-line block ×4, first 2 shown]
	v_pk_add_f32 v[118:119], v[118:119], v[50:51]
	v_mad_u32_u24 v124, v0, s33, 0
	v_pk_add_f32 v[118:119], v[118:119], v[48:49]
	s_mov_b32 s80, s67
	v_pk_add_f32 v[118:119], v[118:119], v[42:43]
	s_mov_b32 s81, s54
	v_pk_add_f32 v[118:119], v[118:119], v[30:31]
	v_mov_b32_e32 v15, v14
	v_mov_b32_e32 v119, v103
	v_pk_add_f32 v[118:119], v[118:119], v[12:13]
	v_mov_b32_e32 v82, v63
	v_pk_add_f32 v[118:119], v[118:119], v[104:105]
	;; [unrolled: 2-line block ×3, first 2 shown]
	s_mov_b32 s78, s40
	v_pk_add_f32 v[118:119], v[108:109], v[118:119]
	s_mov_b32 s79, s3
	v_pk_add_f32 v[110:111], v[110:111], v[118:119]
	v_mov_b32_e32 v80, v13
	v_pk_add_f32 v[112:113], v[112:113], v[110:111]
	v_mov_b32_e32 v81, v13
	v_pk_add_f32 v[114:115], v[114:115], v[112:113]
	v_mov_b32_e32 v17, v16
	v_pk_add_f32 v[114:115], v[116:117], v[114:115]
	ds_write2_b32 v124, v114, v115 offset1:1
	v_pk_mul_f32 v[114:115], v[78:79], s[80:81]
	s_mov_b32 s80, s75
	s_mov_b32 s81, s70
	v_pk_fma_f32 v[114:115], v[14:15], s[78:79], v[114:115]
	s_mov_b32 s78, s38
	s_mov_b32 s79, s2
	v_pk_mul_f32 v[116:117], v[82:83], s[80:81]
	v_mov_b32_e32 v102, v65
	v_mov_b32_e32 v103, v65
	v_pk_add_f32 v[114:115], v[80:81], v[114:115]
	v_pk_fma_f32 v[116:117], v[16:17], s[78:79], v[116:117]
	s_mov_b32 s80, s70
	s_mov_b32 s81, s48
	v_mov_b32_e32 v55, v54
	v_pk_add_f32 v[114:115], v[114:115], v[116:117]
	s_mov_b32 s78, s2
	s_mov_b32 s79, s8
	v_pk_mul_f32 v[116:117], v[102:103], s[80:81]
	v_mov_b32_e32 v104, v73
	v_mov_b32_e32 v105, v73
	v_pk_fma_f32 v[116:117], v[54:55], s[78:79], v[116:117]
	s_mov_b32 s80, s63
	s_mov_b32 s81, s51
	v_mov_b32_e32 v57, v56
	v_pk_add_f32 v[114:115], v[114:115], v[116:117]
	s_mov_b32 s78, s8
	s_mov_b32 s79, s13
	v_pk_mul_f32 v[116:117], v[104:105], s[80:81]
	v_mov_b32_e32 v106, v75
	v_mov_b32_e32 v107, v75
	;; [unrolled: 10-line block ×4, first 2 shown]
	v_pk_fma_f32 v[116:117], v[68:69], s[78:79], v[116:117]
	s_mov_b32 s74, s43
	v_mov_b32_e32 v118, v52
	v_mov_b32_e32 v119, v52
	v_pk_add_f32 v[114:115], v[114:115], v[116:117]
	s_mov_b32 s78, s3
	s_mov_b32 s79, s38
	v_pk_mul_f32 v[116:117], v[110:111], s[74:75]
	v_mov_b32_e32 v112, v84
	v_mov_b32_e32 v113, v84
	v_pk_fma_f32 v[116:117], v[118:119], s[78:79], v[116:117]
	s_mov_b32 s80, s45
	s_mov_b32 s81, s50
	v_mov_b32_e32 v71, v70
	v_pk_add_f32 v[114:115], v[116:117], v[114:115]
	s_mov_b32 s78, s41
	s_mov_b32 s79, s12
	v_pk_mul_f32 v[116:117], v[112:113], s[80:81]
	v_mul_f32_e32 v99, 0xbf763a35, v61
	v_pk_fma_f32 v[116:117], v[70:71], s[78:79], v[116:117]
	v_mov_b32_e32 v101, v97
	v_pk_add_f32 v[114:115], v[116:117], v[114:115]
	ds_write2_b32 v124, v114, v115 offset0:2 offset1:3
	v_pk_mul_f32 v[114:115], v[60:61], s[58:59] op_sel:[1,0]
	v_mul_f32_e32 v120, 0x3f06c442, v63
	v_mov_b32_e32 v115, v99
	v_pk_add_f32 v[100:101], v[100:101], v[114:115] neg_lo:[0,1] neg_hi:[0,1]
	v_pk_mul_f32 v[114:115], v[62:63], s[60:61] op_sel:[1,0]
	v_mul_f32_e32 v122, 0x3f2c7751, v65
	v_mov_b32_e32 v99, v95
	v_pk_mul_f32 v[116:117], v[64:65], s[62:63] op_sel:[1,0]
	v_mov_b32_e32 v115, v120
	v_mul_f32_e32 v123, 0xbf65296c, v73
	v_pk_add_f32 v[98:99], v[98:99], v[114:115] neg_lo:[0,1] neg_hi:[0,1]
	v_pk_mul_f32 v[114:115], v[72:73], s[64:65] op_sel:[1,0]
	v_pk_add_f32 v[100:101], v[80:81], v[100:101]
	v_mov_b32_e32 v97, v93
	v_mov_b32_e32 v117, v122
	v_mul_f32_e32 v125, 0xbe3c28d5, v75
	v_pk_add_f32 v[98:99], v[100:101], v[98:99]
	v_pk_mul_f32 v[100:101], v[74:75], s[66:67] op_sel:[1,0]
	v_pk_add_f32 v[96:97], v[96:97], v[116:117] neg_lo:[0,1] neg_hi:[0,1]
	v_mov_b32_e32 v95, v91
	v_mov_b32_e32 v115, v123
	v_mul_f32_e32 v126, 0x3f7ee86f, v77
	v_pk_mul_f32 v[120:121], v[76:77], s[68:69] op_sel:[1,0]
	v_pk_add_f32 v[96:97], v[98:99], v[96:97]
	v_pk_add_f32 v[94:95], v[94:95], v[114:115] neg_lo:[0,1] neg_hi:[0,1]
	v_mov_b32_e32 v93, v87
	v_mov_b32_e32 v101, v125
	v_mul_f32_e32 v127, 0xbeb8f4ab, v37
	v_pk_mul_f32 v[116:117], v[36:37], s[70:71] op_sel:[1,0]
	v_pk_add_f32 v[94:95], v[96:97], v[94:95]
	v_pk_add_f32 v[92:93], v[92:93], v[100:101] neg_lo:[0,1] neg_hi:[0,1]
	v_mov_b32_e32 v91, v10
	v_mov_b32_e32 v121, v126
	v_pk_mul_f32 v[98:99], v[84:85], s[72:73] op_sel_hi:[0,1]
	v_pk_add_f32 v[92:93], v[94:95], v[92:93]
	v_pk_add_f32 v[90:91], v[90:91], v[120:121] neg_lo:[0,1] neg_hi:[0,1]
	v_mov_b32_e32 v87, v1
	v_mov_b32_e32 v117, v127
	v_mul_f32_e32 v99, 0xbf4c4adb, v84
	v_pk_add_f32 v[90:91], v[92:93], v[90:91]
	v_pk_add_f32 v[86:87], v[86:87], v[116:117] neg_lo:[0,1] neg_hi:[0,1]
	s_mov_b32 s78, s2
	v_pk_add_f32 v[86:87], v[86:87], v[90:91]
	v_pk_add_f32 v[88:89], v[88:89], v[98:99] neg_lo:[0,1] neg_hi:[0,1]
	v_mul_f32_e32 v22, 0xbf7ba420, v14
	v_pk_mul_f32 v[14:15], v[14:15], s[78:79]
	s_mov_b32 s78, s42
	s_mov_b32 s79, s55
	;; [unrolled: 1-line block ×4, first 2 shown]
	v_pk_add_f32 v[86:87], v[88:89], v[86:87]
	v_mul_f32_e32 v62, 0x3f6eb680, v16
	v_pk_mul_f32 v[16:17], v[16:17], s[80:81]
	s_mov_b32 s80, s52
	s_mov_b32 s81, s54
	;; [unrolled: 1-line block ×4, first 2 shown]
	ds_write2_b32 v124, v86, v87 offset0:4 offset1:5
	v_pk_fma_f32 v[86:87], v[78:79], s[78:79], v[14:15] neg_lo:[1,0,0] neg_hi:[1,0,0]
	v_mul_f32_e32 v72, 0xbf59a7d5, v54
	v_pk_mul_f32 v[54:55], v[54:55], s[82:83]
	s_mov_b32 s82, s45
	s_mov_b32 s83, s46
	s_mov_b32 s84, s12
	s_mov_b32 s85, s2
	v_pk_add_f32 v[86:87], v[80:81], v[86:87]
	v_pk_fma_f32 v[88:89], v[82:83], s[80:81], v[16:17] neg_lo:[1,0,0] neg_hi:[1,0,0]
	v_mul_f32_e32 v76, 0x3f3d2fb0, v56
	v_pk_mul_f32 v[56:57], v[56:57], s[84:85]
	s_mov_b32 s84, s55
	s_mov_b32 s85, s70
	s_mov_b32 s86, s38
	s_mov_b32 s87, s41
	v_pk_add_f32 v[86:87], v[86:87], v[88:89]
	;; [unrolled: 8-line block ×4, first 2 shown]
	v_pk_fma_f32 v[88:89], v[106:107], s[86:87], v[66:67] neg_lo:[1,0,0] neg_hi:[1,0,0]
	v_pk_mul_f32 v[118:119], v[118:119], s[90:91]
	s_mov_b32 s90, s48
	s_mov_b32 s91, s67
	s_mov_b32 s92, s3
	s_mov_b32 s93, s13
	v_pk_add_f32 v[86:87], v[86:87], v[88:89]
	v_pk_fma_f32 v[88:89], v[108:109], s[88:89], v[68:69] neg_lo:[1,0,0] neg_hi:[1,0,0]
	v_mul_f32_e32 v92, 0x3dbcf732, v70
	v_pk_mul_f32 v[70:71], v[70:71], s[92:93]
	s_mov_b32 s92, s54
	s_mov_b32 s93, s51
	v_pk_add_f32 v[86:87], v[86:87], v[88:89]
	v_pk_fma_f32 v[88:89], v[110:111], s[90:91], v[118:119] neg_lo:[1,0,0] neg_hi:[1,0,0]
	v_mul_f32_e32 v60, 0xbe3c28d5, v61
	v_pk_add_f32 v[86:87], v[88:89], v[86:87]
	v_pk_fma_f32 v[88:89], v[112:113], s[92:93], v[70:71] neg_lo:[1,0,0] neg_hi:[1,0,0]
	v_mul_f32_e32 v64, 0x3eb8f4ab, v63
	v_pk_add_f32 v[86:87], v[88:89], v[86:87]
	ds_write2_b32 v124, v86, v87 offset0:6 offset1:7
	v_pk_add_f32 v[86:87], v[22:23], v[60:61] neg_lo:[0,1] neg_hi:[0,1]
	v_pk_add_f32 v[60:61], v[22:23], v[60:61]
	v_mul_f32_e32 v74, 0xbf06c442, v65
	v_mov_b32_e32 v87, v60
	v_pk_add_f32 v[60:61], v[80:81], v[86:87]
	v_pk_add_f32 v[86:87], v[62:63], v[64:65] neg_lo:[0,1] neg_hi:[0,1]
	v_pk_add_f32 v[62:63], v[62:63], v[64:65]
	v_pk_add_f32 v[64:65], v[72:73], v[74:75]
	v_mov_b32_e32 v87, v62
	v_pk_add_f32 v[62:63], v[72:73], v[74:75] neg_lo:[0,1] neg_hi:[0,1]
	v_mul_f32_e32 v96, 0x3f2c7751, v73
	v_pk_add_f32 v[60:61], v[60:61], v[86:87]
	v_mov_b32_e32 v63, v64
	v_pk_add_f32 v[60:61], v[60:61], v[62:63]
	v_pk_add_f32 v[62:63], v[76:77], v[96:97] neg_lo:[0,1] neg_hi:[0,1]
	v_pk_add_f32 v[64:65], v[76:77], v[96:97]
	v_mul_f32_e32 v114, 0xbf4c4adb, v75
	v_mov_b32_e32 v63, v64
	v_pk_add_f32 v[60:61], v[60:61], v[62:63]
	v_pk_add_f32 v[62:63], v[100:101], v[114:115] neg_lo:[0,1] neg_hi:[0,1]
	v_pk_add_f32 v[64:65], v[100:101], v[114:115]
	v_pk_fma_f32 v[14:15], v[78:79], s[78:79], v[14:15]
	v_mul_f32_e32 v122, 0x3f65296c, v77
	v_mov_b32_e32 v63, v64
	v_pk_add_f32 v[14:15], v[80:81], v[14:15]
	v_pk_fma_f32 v[16:17], v[82:83], s[80:81], v[16:17]
	v_pk_add_f32 v[60:61], v[60:61], v[62:63]
	v_pk_add_f32 v[62:63], v[94:95], v[122:123] neg_lo:[0,1] neg_hi:[0,1]
	v_pk_add_f32 v[64:65], v[94:95], v[122:123]
	v_pk_add_f32 v[14:15], v[14:15], v[16:17]
	v_pk_fma_f32 v[16:17], v[102:103], s[82:83], v[54:55]
	v_mul_f32_e32 v10, 0xbe8c1d8e, v52
	v_mul_f32_e32 v120, 0xbf763a35, v37
	v_mov_b32_e32 v63, v64
	v_pk_add_f32 v[14:15], v[14:15], v[16:17]
	v_pk_fma_f32 v[16:17], v[104:105], s[84:85], v[56:57]
	v_pk_add_f32 v[60:61], v[60:61], v[62:63]
	v_pk_add_f32 v[62:63], v[10:11], v[120:121] neg_lo:[0,1] neg_hi:[0,1]
	v_pk_add_f32 v[64:65], v[10:11], v[120:121]
	v_pk_add_f32 v[14:15], v[14:15], v[16:17]
	v_pk_fma_f32 v[16:17], v[106:107], s[86:87], v[66:67]
	v_mul_f32_e32 v84, 0x3f7ee86f, v84
	v_mov_b32_e32 v63, v64
	v_pk_add_f32 v[14:15], v[14:15], v[16:17]
	v_pk_fma_f32 v[16:17], v[108:109], s[88:89], v[68:69]
	v_pk_add_f32 v[60:61], v[62:63], v[60:61]
	v_pk_add_f32 v[62:63], v[92:93], v[84:85] neg_lo:[0,1] neg_hi:[0,1]
	v_pk_add_f32 v[64:65], v[92:93], v[84:85]
	v_pk_add_f32 v[14:15], v[14:15], v[16:17]
	v_pk_fma_f32 v[16:17], v[110:111], s[90:91], v[118:119]
	v_mov_b32_e32 v63, v64
	v_pk_add_f32 v[14:15], v[16:17], v[14:15]
	v_pk_fma_f32 v[16:17], v[112:113], s[92:93], v[70:71]
	v_pk_add_f32 v[60:61], v[62:63], v[60:61]
	v_pk_add_f32 v[14:15], v[16:17], v[14:15]
	ds_write2_b32 v124, v60, v61 offset0:8 offset1:9
	v_mov_b32_e32 v10, v15
	v_mov_b32_e32 v1, v14
	ds_write2_b32 v124, v15, v14 offset0:10 offset1:11
	ds_write_b32 v124, v11 offset:48
	ds_write2_b32 v124, v8, v9 offset0:13 offset1:14
	ds_write2_b32 v124, v6, v7 offset0:15 offset1:16
.LBB0_13:
	s_or_b64 exec, exec, s[76:77]
	v_mov_b32_e32 v14, v39
	v_mov_b32_e32 v15, v45
	;; [unrolled: 1-line block ×4, first 2 shown]
	v_pk_add_f32 v[70:71], v[14:15], v[16:17]
	v_mov_b32_e32 v14, v38
	v_mov_b32_e32 v15, v44
	;; [unrolled: 1-line block ×4, first 2 shown]
	v_pk_add_f32 v[116:117], v[14:15], v[16:17] neg_lo:[0,1] neg_hi:[0,1]
	s_mov_b32 s78, s51
	s_mov_b32 s79, s50
	;; [unrolled: 1-line block ×4, first 2 shown]
	v_pk_mul_f32 v[118:119], v[116:117], s[78:79]
	v_mov_b32_e32 v16, v41
	v_mov_b32_e32 v17, v47
	;; [unrolled: 1-line block ×4, first 2 shown]
	v_pk_fma_f32 v[14:15], v[70:71], s[76:77], v[118:119] neg_lo:[0,0,1] neg_hi:[0,0,1]
	v_pk_add_f32 v[72:73], v[16:17], v[54:55]
	v_mov_b32_e32 v16, v40
	v_mov_b32_e32 v17, v46
	;; [unrolled: 1-line block ×4, first 2 shown]
	v_pk_mul_f32 v[90:91], v[116:117], s[44:45] op_sel_hi:[0,1]
	v_pk_add_f32 v[112:113], v[16:17], v[54:55] neg_lo:[0,1] neg_hi:[0,1]
	v_mov_b32_e32 v54, v51
	v_mov_b32_e32 v55, v49
	;; [unrolled: 1-line block ×4, first 2 shown]
	v_add_f32_e32 v1, v35, v14
	v_pk_add_f32 v[64:65], v[30:31], v[12:13] neg_lo:[0,1] neg_hi:[0,1]
	v_pk_fma_f32 v[12:13], v[70:71], s[40:41], v[90:91] op_sel_hi:[0,1,1] neg_lo:[0,0,1] neg_hi:[0,0,1]
	v_pk_mul_f32 v[110:111], v[116:117], s[46:47] op_sel:[1,0]
	v_pk_add_f32 v[74:75], v[54:55], v[56:57]
	v_mov_b32_e32 v54, v50
	v_mov_b32_e32 v55, v48
	;; [unrolled: 1-line block ×4, first 2 shown]
	v_add_f32_e32 v1, v1, v15
	v_pk_add_f32 v[12:13], v[34:35], v[12:13] op_sel:[1,0]
	v_pk_fma_f32 v[14:15], v[70:71], s[38:39], v[110:111] op_sel:[1,0,0] neg_lo:[0,0,1] neg_hi:[0,0,1]
	v_pk_mul_f32 v[106:107], v[112:113], s[42:43] op_sel_hi:[0,1]
	v_pk_add_f32 v[94:95], v[54:55], v[56:57] neg_lo:[0,1] neg_hi:[0,1]
	v_pk_add_f32 v[12:13], v[12:13], v[14:15]
	v_pk_fma_f32 v[14:15], v[72:73], s[2:3], v[106:107] op_sel_hi:[0,1,1] neg_lo:[0,0,1] neg_hi:[0,0,1]
	v_pk_mul_f32 v[108:109], v[112:113], s[48:49] op_sel:[1,0]
	v_pk_add_f32 v[12:13], v[12:13], v[14:15]
	v_pk_fma_f32 v[14:15], v[72:73], s[8:9], v[108:109] op_sel:[1,0,0] neg_lo:[0,0,1] neg_hi:[0,0,1]
	v_pk_mul_f32 v[102:103], v[94:95], s[50:51] op_sel_hi:[0,1]
	v_pk_add_f32 v[12:13], v[12:13], v[14:15]
	v_pk_fma_f32 v[14:15], v[74:75], s[12:13], v[102:103] op_sel_hi:[0,1,1] neg_lo:[0,0,1] neg_hi:[0,0,1]
	v_pk_mul_f32 v[98:99], v[94:95], s[52:53] op_sel:[1,0]
	s_mov_b32 s80, s67
	s_mov_b32 s81, s43
	v_pk_add_f32 v[12:13], v[12:13], v[14:15]
	v_pk_fma_f32 v[14:15], v[74:75], s[16:17], v[98:99] op_sel:[1,0,0] neg_lo:[0,0,1] neg_hi:[0,0,1]
	v_pk_mul_f32 v[96:97], v[36:37], s[54:55] op_sel_hi:[0,1]
	s_mov_b32 s78, s40
	s_mov_b32 s79, s3
	v_pk_mul_f32 v[100:101], v[112:113], s[80:81]
	v_pk_add_f32 v[62:63], v[58:59], v[34:35]
	v_pk_add_f32 v[12:13], v[12:13], v[14:15]
	v_pk_fma_f32 v[14:15], v[52:53], s[20:21], v[96:97] op_sel:[1,0,0] neg_lo:[0,0,1] neg_hi:[0,0,1]
	v_pk_mul_f32 v[88:89], v[64:65], s[56:57] op_sel_hi:[0,1]
	v_pk_fma_f32 v[16:17], v[72:73], s[78:79], v[100:101] neg_lo:[0,0,1] neg_hi:[0,0,1]
	v_pk_add_f32 v[12:13], v[14:15], v[12:13]
	v_pk_fma_f32 v[14:15], v[62:63], s[14:15], v[88:89] op_sel_hi:[0,1,1] neg_lo:[0,0,1] neg_hi:[0,0,1]
	v_pk_mul_f32 v[82:83], v[116:117], s[58:59] op_sel_hi:[0,1]
	v_add_f32_e32 v1, v1, v16
	v_pk_add_f32 v[12:13], v[14:15], v[12:13]
	v_pk_fma_f32 v[14:15], v[70:71], s[18:19], v[82:83] op_sel_hi:[0,1,1] neg_lo:[0,0,1] neg_hi:[0,0,1]
	v_pk_mul_f32 v[86:87], v[116:117], s[60:61] op_sel:[1,0]
	v_add_f32_e32 v1, v1, v17
	v_pk_add_f32 v[14:15], v[34:35], v[14:15] op_sel:[1,0]
	v_pk_fma_f32 v[16:17], v[70:71], s[22:23], v[86:87] op_sel:[1,0,0] neg_lo:[0,0,1] neg_hi:[0,0,1]
	v_pk_mul_f32 v[80:81], v[112:113], s[62:63] op_sel_hi:[0,1]
	s_mov_b32 s74, s48
	v_pk_add_f32 v[14:15], v[14:15], v[16:17]
	v_pk_fma_f32 v[16:17], v[72:73], s[24:25], v[80:81] op_sel_hi:[0,1,1] neg_lo:[0,0,1] neg_hi:[0,0,1]
	v_pk_mul_f32 v[84:85], v[112:113], s[64:65] op_sel:[1,0]
	v_pk_mul_f32 v[114:115], v[94:95], s[74:75]
	v_pk_add_f32 v[14:15], v[14:15], v[16:17]
	v_pk_fma_f32 v[16:17], v[72:73], s[26:27], v[84:85] op_sel:[1,0,0] neg_lo:[0,0,1] neg_hi:[0,0,1]
	v_pk_mul_f32 v[76:77], v[94:95], s[66:67] op_sel_hi:[0,1]
	v_pk_fma_f32 v[54:55], v[74:75], s[8:9], v[114:115] neg_lo:[0,0,1] neg_hi:[0,0,1]
	v_mov_b32_e32 v92, v53
	v_mov_b32_e32 v93, v36
	s_mov_b32 s74, s41
	s_mov_b32 s75, s45
	v_pk_add_f32 v[14:15], v[14:15], v[16:17]
	v_pk_fma_f32 v[16:17], v[74:75], s[28:29], v[76:77] op_sel_hi:[0,1,1] neg_lo:[0,0,1] neg_hi:[0,0,1]
	v_pk_mul_f32 v[104:105], v[92:93], s[74:75]
	v_add_f32_e32 v1, v1, v54
	v_pk_add_f32 v[14:15], v[14:15], v[16:17]
	v_pk_mul_f32 v[16:17], v[94:95], s[68:69] op_sel:[1,0]
	v_add_f32_e32 v1, v1, v55
	v_sub_f32_e32 v10, v104, v105
	v_pk_fma_f32 v[54:55], v[74:75], s[30:31], v[16:17] op_sel:[1,0,0] neg_lo:[0,0,1] neg_hi:[0,0,1]
	v_pk_mul_f32 v[78:79], v[36:37], s[70:71] op_sel_hi:[0,1]
	v_add_f32_e32 v10, v10, v1
	v_pk_add_f32 v[14:15], v[14:15], v[54:55]
	v_pk_fma_f32 v[54:55], v[52:53], s[34:35], v[78:79] op_sel:[1,0,0] neg_lo:[0,0,1] neg_hi:[0,0,1]
	v_pk_mul_f32 v[68:69], v[64:65], s[72:73] op_sel_hi:[0,1]
	v_lshl_add_u32 v1, v0, 2, 0
	v_pk_add_f32 v[14:15], v[54:55], v[14:15]
	v_pk_fma_f32 v[54:55], v[62:63], s[36:37], v[68:69] op_sel_hi:[0,1,1] neg_lo:[0,0,1] neg_hi:[0,0,1]
	v_add_u32_e32 v22, 0x700, v1
	v_add_u32_e32 v24, 0xc00, v1
	v_add_u32_e32 v20, 0x1700, v1
	v_add_u32_e32 v30, 0x154, v0
	v_add_u32_e32 v85, 0xaa, v0
	v_add_u32_e32 v28, 0x1200, v1
	v_pk_add_f32 v[14:15], v[54:55], v[14:15]
	s_waitcnt lgkmcnt(0)
	s_barrier
	ds_read2_b32 v[56:57], v22 offset0:62 offset1:232
	ds_read2_b32 v[54:55], v24 offset0:82 offset1:252
	;; [unrolled: 1-line block ×3, first 2 shown]
	v_lshl_add_u32 v87, v85, 2, 0
	ds_read2_b32 v[60:61], v28 offset0:38 offset1:208
	v_lshl_add_u32 v26, v30, 2, 0
	ds_read_b32 v121, v1 offset:7480
	ds_read_b32 v120, v1
	ds_read_b32 v32, v87
	;; [unrolled: 1-line block ×3, first 2 shown]
	v_mul_f32_e32 v122, 0xbf4c4adb, v64
	v_fma_f32 v17, v62, s2, -v122
	v_add_f32_e32 v17, v17, v10
	s_waitcnt lgkmcnt(0)
	s_barrier
	s_and_saveexec_b64 s[42:43], s[0:1]
	s_cbranch_execz .LBB0_15
; %bb.14:
	v_pk_add_f32 v[38:39], v[34:35], v[38:39]
	v_pk_mul_f32 v[124:125], v[70:71], s[76:77]
	v_pk_add_f32 v[38:39], v[38:39], v[44:45]
	v_pk_mul_f32 v[132:133], v[70:71], s[38:39] op_sel:[1,0]
	v_pk_add_f32 v[40:41], v[38:39], v[40:41]
	s_mov_b32 s39, 0x3eb8f4ab
	v_pk_add_f32 v[46:47], v[40:41], v[46:47]
	s_mov_b32 s38, 0xbe3c28d5
	v_pk_add_f32 v[46:47], v[46:47], v[50:51]
	v_mov_b32_e32 v10, v35
	v_pk_add_f32 v[48:49], v[46:47], v[48:49]
	s_mov_b32 s1, 0x3f6eb680
	v_pk_add_f32 v[134:135], v[48:49], v[42:43]
	s_mov_b32 s0, 0xbf7ba420
	v_pk_mul_f32 v[42:43], v[116:117], s[38:39]
	v_pk_add_f32 v[50:51], v[124:125], v[118:119]
	v_mov_b32_e32 v44, v116
	v_mov_b32_e32 v45, v116
	;; [unrolled: 1-line block ×4, first 2 shown]
	v_pk_fma_f32 v[48:49], v[70:71], s[0:1], v[42:43]
	v_pk_add_f32 v[116:117], v[10:11], v[50:51]
	v_mov_b32_e32 v50, v51
	v_pk_add_f32 v[116:117], v[116:117], v[50:51]
	v_pk_add_f32 v[50:51], v[10:11], v[48:49]
	v_mov_b32_e32 v48, v49
	v_pk_fma_f32 v[42:43], v[70:71], s[0:1], v[42:43] neg_lo:[0,0,1] neg_hi:[0,0,1]
	v_pk_mul_f32 v[126:127], v[72:73], s[78:79]
	v_pk_mul_f32 v[130:131], v[70:71], s[40:41] op_sel_hi:[0,1]
	v_pk_add_f32 v[48:49], v[50:51], v[48:49]
	v_pk_add_f32 v[50:51], v[10:11], v[42:43]
	v_mov_b32_e32 v42, v43
	s_mov_b32 s40, 0xbf06c442
	v_pk_add_f32 v[118:119], v[50:51], v[42:43]
	v_pk_add_f32 v[42:43], v[126:127], v[100:101]
	s_mov_b32 s44, 0xbf59a7d5
	s_mov_b32 s41, 0x3f2c7751
	v_pk_mul_f32 v[128:129], v[74:75], s[8:9]
	v_mov_b32_e32 v50, v112
	v_mov_b32_e32 v51, v112
	;; [unrolled: 1-line block ×4, first 2 shown]
	s_mov_b32 s45, 0x3f3d2fb0
	v_pk_mul_f32 v[112:113], v[112:113], s[40:41]
	v_pk_add_f32 v[116:117], v[116:117], v[42:43]
	v_mov_b32_e32 v42, v43
	v_pk_add_f32 v[116:117], v[116:117], v[42:43]
	v_pk_fma_f32 v[42:43], v[72:73], s[44:45], v[112:113]
	v_pk_fma_f32 v[112:113], v[72:73], s[44:45], v[112:113] neg_lo:[0,0,1] neg_hi:[0,0,1]
	v_pk_add_f32 v[114:115], v[128:129], v[114:115]
	s_mov_b32 s48, 0xbf1a4643
	s_mov_b32 s47, 0x3f65296c
	;; [unrolled: 1-line block ×3, first 2 shown]
	v_pk_add_f32 v[48:49], v[48:49], v[42:43]
	v_mov_b32_e32 v42, v43
	v_pk_add_f32 v[118:119], v[118:119], v[112:113]
	v_mov_b32_e32 v90, v113
	v_mov_b32_e32 v112, v94
	;; [unrolled: 1-line block ×5, first 2 shown]
	s_mov_b32 s49, 0x3ee437d1
	v_pk_mul_f32 v[94:95], v[94:95], s[46:47]
	v_pk_add_f32 v[116:117], v[116:117], v[114:115]
	v_pk_add_f32 v[48:49], v[48:49], v[42:43]
	;; [unrolled: 1-line block ×3, first 2 shown]
	v_mov_b32_e32 v37, v116
	v_pk_fma_f32 v[116:117], v[74:75], s[48:49], v[94:95]
	v_pk_fma_f32 v[94:95], v[74:75], s[48:49], v[94:95] neg_lo:[0,0,1] neg_hi:[0,0,1]
	v_pk_add_f32 v[48:49], v[48:49], v[116:117]
	v_mov_b32_e32 v90, v117
	v_pk_add_f32 v[116:117], v[118:119], v[94:95]
	s_mov_b32 s51, 0xbf763a35
	s_mov_b32 s50, 0xbe8c1d8e
	v_pk_add_f32 v[114:115], v[36:37], v[114:115]
	v_mov_b32_e32 v37, v116
	v_pk_mul_f32 v[118:119], v[92:93], s[50:51]
	v_pk_add_f32 v[48:49], v[48:49], v[90:91]
	v_pk_add_f32 v[94:95], v[36:37], v[94:95]
	v_mov_b32_e32 v37, v104
	v_mov_b32_e32 v90, v119
	v_pk_add_f32 v[116:117], v[36:37], v[104:105]
	v_pk_fma_f32 v[104:105], v[92:93], s[50:51], v[90:91]
	v_mov_b32_e32 v37, v118
	v_pk_mul_f32 v[118:119], v[72:73], s[2:3] op_sel_hi:[0,1]
	v_mov_b32_e32 v130, v135
	v_mov_b32_e32 v90, v31
	v_mov_b32_e32 v66, v70
	v_mov_b32_e32 v67, v70
	v_mov_b32_e32 v40, v71
	v_mov_b32_e32 v41, v71
	v_pk_add_f32 v[110:111], v[132:133], v[110:111]
	v_pk_add_f32 v[106:107], v[118:119], v[106:107]
	v_pk_mul_f32 v[118:119], v[72:73], s[8:9] op_sel:[1,0]
	v_pk_add_f32 v[90:91], v[130:131], v[90:91]
	v_pk_mul_f32 v[134:135], v[70:71], s[18:19] op_sel_hi:[0,1]
	v_pk_mul_f32 v[70:71], v[70:71], s[22:23] op_sel:[1,0]
	v_mov_b32_e32 v38, v35
	v_mov_b32_e32 v39, v35
	v_pk_add_f32 v[108:109], v[118:119], v[108:109]
	v_pk_mul_f32 v[118:119], v[74:75], s[12:13] op_sel_hi:[0,1]
	v_pk_add_f32 v[34:35], v[90:91], v[34:35]
	v_mov_b32_e32 v110, v23
	v_mov_b32_e32 v135, v70
	;; [unrolled: 1-line block ×7, first 2 shown]
	v_pk_add_f32 v[102:103], v[118:119], v[102:103]
	v_pk_mul_f32 v[118:119], v[74:75], s[16:17] op_sel:[1,0]
	v_pk_add_f32 v[34:35], v[34:35], v[110:111]
	v_pk_mul_f32 v[110:111], v[72:73], s[24:25] op_sel_hi:[0,1]
	v_pk_mul_f32 v[72:73], v[72:73], s[26:27] op_sel:[1,0]
	v_pk_add_f32 v[70:71], v[134:135], v[82:83]
	v_pk_add_f32 v[98:99], v[118:119], v[98:99]
	v_pk_mul_f32 v[118:119], v[52:53], s[20:21] op_sel:[1,0]
	v_pk_add_f32 v[82:83], v[10:11], v[70:71]
	v_mov_b32_e32 v10, v71
	v_mov_b32_e32 v111, v72
	;; [unrolled: 1-line block ×3, first 2 shown]
	v_pk_add_f32 v[96:97], v[118:119], v[96:97]
	v_mov_b32_e32 v118, v74
	v_mov_b32_e32 v119, v74
	;; [unrolled: 1-line block ×4, first 2 shown]
	v_pk_mul_f32 v[136:137], v[74:75], s[28:29] op_sel_hi:[0,1]
	v_pk_mul_f32 v[74:75], v[74:75], s[30:31] op_sel:[1,0]
	v_pk_add_f32 v[70:71], v[82:83], v[10:11]
	v_pk_add_f32 v[72:73], v[110:111], v[80:81]
	v_mov_b32_e32 v137, v74
	v_pk_add_f32 v[70:71], v[70:71], v[72:73]
	v_mov_b32_e32 v10, v73
	v_mov_b32_e32 v77, v16
	v_pk_add_f32 v[70:71], v[70:71], v[10:11]
	v_pk_add_f32 v[72:73], v[136:137], v[76:77]
	s_mov_b32 s9, 0xbf65296c
	s_mov_b32 s8, 0xbf2c7751
	v_pk_add_f32 v[70:71], v[70:71], v[72:73]
	v_mov_b32_e32 v10, v73
	s_mov_b32 s2, s45
	s_mov_b32 s3, s49
	v_pk_mul_f32 v[72:73], v[44:45], s[8:9]
	s_mov_b32 s12, 0xbf7ee86f
	s_mov_b32 s13, s46
	v_pk_fma_f32 v[72:73], v[66:67], s[2:3], v[72:73]
	s_mov_b32 s2, 0x3dbcf732
	s_mov_b32 s3, s48
	v_pk_mul_f32 v[74:75], v[46:47], s[12:13]
	v_pk_add_f32 v[72:73], v[38:39], v[72:73]
	v_pk_fma_f32 v[74:75], v[40:41], s[2:3], v[74:75]
	s_mov_b32 s17, 0x3e3c28d5
	s_mov_b32 s16, s46
	v_pk_mul_f32 v[90:91], v[62:63], s[14:15] op_sel_hi:[0,1]
	v_pk_add_f32 v[72:73], v[72:73], v[74:75]
	s_mov_b32 s14, s48
	s_mov_b32 s15, s0
	v_pk_mul_f32 v[74:75], v[50:51], s[16:17]
	s_mov_b32 s17, 0x3f763a35
	v_pk_fma_f32 v[74:75], v[42:43], s[14:15], v[74:75]
	s_mov_b32 s16, s38
	v_pk_add_f32 v[72:73], v[72:73], v[74:75]
	s_mov_b32 s14, s0
	s_mov_b32 s15, s50
	v_pk_mul_f32 v[74:75], v[100:101], s[16:17]
	s_mov_b32 s19, 0xbeb8f4ab
	v_pk_fma_f32 v[74:75], v[126:127], s[14:15], v[74:75]
	s_mov_b32 s14, 0x3f06c442
	s_mov_b32 s15, s41
	v_pk_add_f32 v[72:73], v[72:73], v[74:75]
	v_pk_mul_f32 v[74:75], v[112:113], s[14:15]
	s_mov_b32 s18, s17
	v_pk_fma_f32 v[74:75], v[118:119], s[44:45], v[74:75]
	s_mov_b32 s14, s50
	v_pk_add_f32 v[72:73], v[72:73], v[74:75]
	s_mov_b32 s15, s1
	v_pk_mul_f32 v[74:75], v[124:125], s[18:19]
	v_pk_fma_f32 v[92:93], v[92:93], s[50:51], v[36:37] neg_lo:[1,0,0] neg_hi:[1,0,0]
	v_mov_b32_e32 v37, v36
	v_pk_fma_f32 v[74:75], v[128:129], s[14:15], v[74:75]
	s_mov_b32 s20, s47
	s_mov_b32 s21, s12
	v_mov_b32_e32 v132, v53
	v_mov_b32_e32 v133, v53
	v_mov_b32_e32 v106, v27
	v_pk_mul_f32 v[52:53], v[52:53], s[34:35] op_sel:[1,0]
	v_pk_add_f32 v[72:73], v[72:73], v[74:75]
	s_mov_b32 s14, s49
	s_mov_b32 s15, s2
	v_pk_mul_f32 v[74:75], v[36:37], s[20:21]
	v_mov_b32_e32 v65, v64
	v_pk_add_f32 v[34:35], v[34:35], v[106:107]
	v_pk_mul_f32 v[106:107], v[62:63], s[36:37] op_sel_hi:[0,1]
	v_mul_f32_e32 v23, 0xbf1a4643, v62
	v_pk_add_f32 v[70:71], v[70:71], v[10:11]
	v_pk_add_f32 v[52:53], v[52:53], v[78:79]
	v_pk_fma_f32 v[74:75], v[132:133], s[14:15], v[74:75]
	s_mov_b32 s20, s39
	s_mov_b32 s21, s40
	v_mov_b32_e32 v130, v62
	v_mov_b32_e32 v131, v62
	v_pk_add_f32 v[72:73], v[74:75], v[72:73]
	s_mov_b32 s14, s1
	s_mov_b32 s15, s44
	v_pk_mul_f32 v[74:75], v[64:65], s[20:21]
	v_mov_b32_e32 v107, v117
	v_mov_b32_e32 v69, v115
	;; [unrolled: 1-line block ×4, first 2 shown]
	s_mov_b32 s20, s46
	v_pk_fma_f32 v[74:75], v[130:131], s[14:15], v[74:75]
	v_pk_add_f32 v[68:69], v[106:107], v[68:69]
	v_pk_add_f32 v[52:53], v[52:53], v[70:71]
	s_mov_b32 s14, s48
	v_pk_mul_f32 v[44:45], v[44:45], s[20:21]
	s_mov_b32 s46, s17
	v_pk_add_f32 v[52:53], v[52:53], v[68:69]
	v_pk_fma_f32 v[68:69], v[66:67], s[14:15], v[44:45]
	s_mov_b32 s20, s50
	s_mov_b32 s21, s49
	v_pk_mul_f32 v[46:47], v[46:47], s[46:47]
	s_mov_b32 s22, s19
	s_mov_b32 s23, s12
	v_pk_add_f32 v[68:69], v[38:39], v[68:69]
	v_pk_fma_f32 v[70:71], v[40:41], s[20:21], v[46:47]
	s_mov_b32 s16, s1
	s_mov_b32 s17, s2
	v_pk_mul_f32 v[50:51], v[50:51], s[22:23]
	v_pk_add_f32 v[68:69], v[68:69], v[70:71]
	v_pk_fma_f32 v[70:71], v[42:43], s[16:17], v[50:51]
	s_mov_b32 s23, 0x3f4c4adb
	s_mov_b32 s22, s40
	v_pk_add_f32 v[68:69], v[68:69], v[70:71]
	s_mov_b32 s12, s44
	s_mov_b32 s13, s48
	v_pk_mul_f32 v[70:71], v[100:101], s[22:23]
	v_pk_add_f32 v[72:73], v[74:75], v[72:73]
	v_pk_fma_f32 v[74:75], v[126:127], s[12:13], v[70:71]
	s_mov_b32 s18, 0x3f7ee86f
	v_pk_fma_f32 v[44:45], v[66:67], s[14:15], v[44:45] neg_lo:[0,0,1] neg_hi:[0,0,1]
	v_pk_add_f32 v[68:69], v[68:69], v[74:75]
	s_mov_b32 s3, s1
	v_pk_mul_f32 v[74:75], v[112:113], s[18:19]
	v_pk_add_f32 v[38:39], v[38:39], v[44:45]
	v_pk_fma_f32 v[40:41], v[40:41], s[20:21], v[46:47] neg_lo:[0,0,1] neg_hi:[0,0,1]
	v_pk_fma_f32 v[76:77], v[118:119], s[2:3], v[74:75]
	s_mov_b32 s9, s38
	v_pk_add_f32 v[38:39], v[38:39], v[40:41]
	v_pk_fma_f32 v[40:41], v[42:43], s[16:17], v[50:51] neg_lo:[0,0,1] neg_hi:[0,0,1]
	v_mov_b32_e32 v108, v33
	v_pk_add_f32 v[68:69], v[68:69], v[76:77]
	s_mov_b32 s18, s45
	s_mov_b32 s19, s0
	v_pk_mul_f32 v[76:77], v[124:125], s[8:9]
	s_mov_b32 s39, s41
	v_pk_add_f32 v[38:39], v[38:39], v[40:41]
	v_pk_fma_f32 v[40:41], v[126:127], s[12:13], v[70:71] neg_lo:[0,0,1] neg_hi:[0,0,1]
	v_pk_add_f32 v[34:35], v[108:109], v[34:35]
	v_mov_b32_e32 v102, v29
	v_pk_fma_f32 v[78:79], v[128:129], s[18:19], v[76:77]
	s_mov_b32 s1, s45
	v_pk_mul_f32 v[36:37], v[36:37], s[38:39]
	v_pk_add_f32 v[38:39], v[38:39], v[40:41]
	v_pk_fma_f32 v[40:41], v[118:119], s[2:3], v[74:75] neg_lo:[0,0,1] neg_hi:[0,0,1]
	v_pk_add_f32 v[34:35], v[102:103], v[34:35]
	v_mov_b32_e32 v98, v25
	v_pk_add_f32 v[68:69], v[68:69], v[78:79]
	v_pk_fma_f32 v[78:79], v[132:133], s[0:1], v[36:37]
	s_mov_b32 s9, s50
	s_mov_b32 s50, s47
	v_pk_add_f32 v[38:39], v[38:39], v[40:41]
	v_pk_fma_f32 v[40:41], v[128:129], s[18:19], v[76:77] neg_lo:[0,0,1] neg_hi:[0,0,1]
	v_mul_f32_e32 v94, 0x3dbcf732, v62
	v_mul_f32_e32 v92, 0x3f7ee86f, v64
	v_pk_add_f32 v[34:35], v[98:99], v[34:35]
	v_mov_b32_e32 v96, v21
	v_pk_add_f32 v[88:89], v[90:91], v[88:89]
	v_pk_add_f32 v[68:69], v[78:79], v[68:69]
	s_mov_b32 s8, s49
	v_pk_mul_f32 v[78:79], v[64:65], s[50:51]
	v_pk_add_f32 v[38:39], v[38:39], v[40:41]
	v_pk_fma_f32 v[36:37], v[132:133], s[0:1], v[36:37] neg_lo:[0,0,1] neg_hi:[0,0,1]
	v_mov_b32_e32 v40, v48
	v_mov_b32_e32 v41, v94
	;; [unrolled: 1-line block ×4, first 2 shown]
	v_pk_add_f32 v[34:35], v[96:97], v[34:35]
	v_mov_b32_e32 v88, v19
	v_pk_add_f32 v[36:37], v[36:37], v[38:39]
	v_pk_fma_f32 v[38:39], v[130:131], s[8:9], v[78:79] neg_lo:[0,0,1] neg_hi:[0,0,1]
	v_pk_add_f32 v[44:45], v[48:49], v[104:105]
	v_pk_add_f32 v[40:41], v[40:41], v[42:43] neg_lo:[0,1] neg_hi:[0,1]
	v_pk_add_f32 v[34:35], v[88:89], v[34:35]
	v_pk_fma_f32 v[80:81], v[130:131], s[8:9], v[78:79]
	v_pk_add_f32 v[36:37], v[38:39], v[36:37]
	v_pk_add_f32 v[38:39], v[94:95], v[92:93]
	v_mov_b32_e32 v45, v41
	v_lshl_add_u32 v16, v0, 6, v1
	v_pk_add_f32 v[68:69], v[80:81], v[68:69]
	v_pk_add_f32 v[38:39], v[38:39], v[44:45]
	ds_write2_b32 v16, v34, v35 offset1:1
	ds_write2_b32 v16, v72, v73 offset0:2 offset1:3
	ds_write2_b32 v16, v52, v53 offset0:4 offset1:5
	;; [unrolled: 1-line block ×4, first 2 shown]
	v_mov_b32_e32 v10, v37
	ds_write2_b32 v16, v37, v36 offset0:10 offset1:11
	ds_write_b32 v16, v17 offset:48
	ds_write2_b32 v16, v14, v15 offset0:13 offset1:14
	ds_write2_b32 v16, v12, v13 offset0:15 offset1:16
.LBB0_15:
	s_or_b64 exec, exec, s[42:43]
	s_movk_i32 s0, 0xf1
	v_mul_lo_u16_sdwa v10, v0, s0 dst_sel:DWORD dst_unused:UNUSED_PAD src0_sel:BYTE_0 src1_sel:DWORD
	v_lshrrev_b16_e32 v10, 12, v10
	v_mul_lo_u16_e32 v16, 17, v10
	v_sub_u16_e32 v16, v0, v16
	v_mov_b32_e32 v19, 3
	v_mul_u32_u24_sdwa v19, v16, v19 dst_sel:DWORD dst_unused:UNUSED_PAD src0_sel:BYTE_0 src1_sel:DWORD
	s_mov_b32 s0, 0xf0f1
	v_lshlrev_b32_e32 v19, 3, v19
	v_mul_u32_u24_sdwa v21, v85, s0 dst_sel:DWORD dst_unused:UNUSED_PAD src0_sel:WORD_0 src1_sel:DWORD
	s_load_dwordx2 s[6:7], s[6:7], 0x0
	s_waitcnt lgkmcnt(0)
	s_barrier
	global_load_dwordx2 v[46:47], v19, s[4:5] offset:16
	global_load_dwordx4 v[34:37], v19, s[4:5]
	v_lshrrev_b32_e32 v19, 20, v21
	v_mul_lo_u16_e32 v23, 17, v19
	v_sub_u16_e32 v23, v85, v23
	v_mul_u32_u24_e32 v25, 3, v23
	v_lshlrev_b32_e32 v25, 3, v25
	global_load_dwordx2 v[48:49], v25, s[4:5] offset:16
	global_load_dwordx4 v[38:41], v25, s[4:5]
	v_mul_u32_u24_sdwa v25, v30, s0 dst_sel:DWORD dst_unused:UNUSED_PAD src0_sel:WORD_0 src1_sel:DWORD
	v_lshrrev_b32_e32 v27, 20, v25
	v_mul_lo_u16_e32 v29, 17, v27
	v_sub_u16_e32 v29, v30, v29
	v_mul_u32_u24_e32 v31, 3, v29
	v_lshlrev_b32_e32 v31, 3, v31
	global_load_dwordx4 v[42:45], v31, s[4:5]
	global_load_dwordx2 v[50:51], v31, s[4:5] offset:16
	ds_read2_b32 v[52:53], v22 offset0:62 offset1:232
	ds_read2_b32 v[62:63], v24 offset0:82 offset1:252
	;; [unrolled: 1-line block ×3, first 2 shown]
	ds_read_b32 v31, v1 offset:7480
	ds_read_b32 v33, v1
	ds_read_b32 v68, v87
	ds_read2_b32 v[66:67], v28 offset0:38 offset1:208
	ds_read_b32 v69, v26
	v_mul_u32_u24_e32 v10, 0x110, v10
	s_movk_i32 s1, 0x79
	s_waitcnt lgkmcnt(0)
	s_barrier
	v_cmp_lt_u32_e64 s[2:3], 33, v0
	s_waitcnt vmcnt(5)
	v_mul_f32_e32 v72, v64, v47
	s_waitcnt vmcnt(4)
	v_mul_f32_e32 v70, v52, v35
	v_mul_f32_e32 v35, v56, v35
	;; [unrolled: 1-line block ×5, first 2 shown]
	s_waitcnt vmcnt(3)
	v_mul_f32_e32 v75, v65, v49
	s_waitcnt vmcnt(2)
	v_mul_f32_e32 v73, v53, v39
	v_mul_f32_e32 v39, v57, v39
	;; [unrolled: 1-line block ×4, first 2 shown]
	v_fma_f32 v56, v56, v34, -v70
	v_fmac_f32_e32 v35, v52, v34
	v_fma_f32 v34, v55, v36, -v71
	v_fmac_f32_e32 v37, v63, v36
	;; [unrolled: 2-line block ×5, first 2 shown]
	v_fma_f32 v40, v59, v48, -v75
	s_waitcnt vmcnt(1)
	v_mul_f32_e32 v76, v62, v43
	v_mul_f32_e32 v43, v54, v43
	v_mul_f32_e32 v77, v67, v45
	v_mul_f32_e32 v45, v61, v45
	s_waitcnt vmcnt(0)
	v_mul_f32_e32 v78, v31, v51
	v_mul_f32_e32 v51, v121, v51
	v_sub_f32_e32 v41, v68, v41
	v_sub_f32_e32 v40, v46, v40
	v_mul_f32_e32 v49, v59, v49
	v_fmac_f32_e32 v43, v62, v42
	v_fmac_f32_e32 v45, v67, v44
	;; [unrolled: 1-line block ×3, first 2 shown]
	v_add_f32_e32 v53, v41, v40
	v_fmac_f32_e32 v49, v65, v48
	v_fma_f32 v48, v54, v42, -v76
	v_fma_f32 v42, v61, v44, -v77
	;; [unrolled: 1-line block ×3, first 2 shown]
	v_fma_f32 v52, v68, 2.0, -v41
	v_fma_f32 v54, v41, 2.0, -v53
	v_sub_f32_e32 v41, v69, v45
	v_sub_f32_e32 v45, v43, v51
	v_mov_b32_e32 v64, 2
	v_sub_f32_e32 v31, v120, v34
	v_sub_f32_e32 v34, v33, v37
	;; [unrolled: 1-line block ×5, first 2 shown]
	v_fma_f32 v46, v46, 2.0, -v40
	v_sub_f32_e32 v40, v18, v42
	v_fma_f32 v42, v69, 2.0, -v41
	v_sub_f32_e32 v44, v48, v44
	v_fma_f32 v43, v43, 2.0, -v45
	v_lshlrev_b32_sdwa v16, v64, v16 dst_sel:DWORD dst_unused:UNUSED_PAD src0_sel:DWORD src1_sel:BYTE_0
	v_fma_f32 v47, v120, 2.0, -v31
	v_fma_f32 v33, v33, 2.0, -v34
	;; [unrolled: 1-line block ×5, first 2 shown]
	v_sub_f32_e32 v49, v39, v49
	v_fma_f32 v18, v18, 2.0, -v40
	v_fma_f32 v48, v48, 2.0, -v44
	v_sub_f32_e32 v51, v42, v43
	v_add3_u32 v10, 0, v10, v16
	v_mul_u32_u24_e32 v16, 0x110, v19
	v_lshlrev_b32_e32 v19, 2, v23
	v_sub_f32_e32 v37, v31, v37
	v_add_f32_e32 v36, v34, v36
	v_sub_f32_e32 v50, v47, v50
	v_sub_f32_e32 v35, v33, v35
	v_fma_f32 v39, v39, 2.0, -v49
	v_sub_f32_e32 v46, v32, v46
	v_sub_f32_e32 v49, v38, v49
	;; [unrolled: 1-line block ×3, first 2 shown]
	v_fma_f32 v55, v42, 2.0, -v51
	v_sub_f32_e32 v42, v40, v45
	v_add3_u32 v16, 0, v16, v19
	v_mul_u32_u24_e32 v19, 0x110, v27
	v_lshlrev_b32_e32 v23, 2, v29
	v_fma_f32 v31, v31, 2.0, -v37
	v_fma_f32 v34, v34, 2.0, -v36
	v_fma_f32 v47, v47, 2.0, -v50
	v_fma_f32 v33, v33, 2.0, -v35
	v_sub_f32_e32 v39, v52, v39
	v_fma_f32 v32, v32, 2.0, -v46
	v_fma_f32 v38, v38, 2.0, -v49
	;; [unrolled: 1-line block ×3, first 2 shown]
	v_add_f32_e32 v44, v41, v44
	v_fma_f32 v40, v40, 2.0, -v42
	v_add3_u32 v23, 0, v19, v23
	v_fma_f32 v52, v52, 2.0, -v39
	v_fma_f32 v45, v41, 2.0, -v44
	ds_write2_b32 v10, v47, v31 offset1:17
	ds_write2_b32 v10, v50, v37 offset0:34 offset1:51
	ds_write2_b32 v16, v32, v38 offset1:17
	ds_write2_b32 v16, v46, v49 offset0:34 offset1:51
	;; [unrolled: 2-line block ×3, first 2 shown]
	s_waitcnt lgkmcnt(0)
	s_barrier
	ds_read2_b32 v[18:19], v22 offset0:62 offset1:232
	ds_read2_b32 v[40:41], v28 offset0:38 offset1:208
	;; [unrolled: 1-line block ×4, first 2 shown]
	ds_read_b32 v27, v1 offset:7480
	ds_read_b32 v65, v1
	ds_read_b32 v66, v87
	ds_read_b32 v67, v26
	s_waitcnt lgkmcnt(0)
	s_barrier
	ds_write2_b32 v10, v33, v34 offset1:17
	ds_write2_b32 v10, v35, v36 offset0:34 offset1:51
	ds_write2_b32 v16, v52, v54 offset1:17
	ds_write2_b32 v16, v39, v53 offset0:34 offset1:51
	;; [unrolled: 2-line block ×3, first 2 shown]
	v_mul_lo_u16_sdwa v10, v0, s1 dst_sel:DWORD dst_unused:UNUSED_PAD src0_sel:BYTE_0 src1_sel:DWORD
	v_lshrrev_b16_e32 v10, 13, v10
	v_mul_lo_u16_e32 v16, 0x44, v10
	v_sub_u16_e32 v68, v0, v16
	v_mov_b32_e32 v16, 4
	v_lshlrev_b32_sdwa v16, v16, v68 dst_sel:DWORD dst_unused:UNUSED_PAD src0_sel:DWORD src1_sel:BYTE_0
	v_lshrrev_b32_e32 v69, 22, v21
	s_waitcnt lgkmcnt(0)
	s_barrier
	global_load_dwordx4 v[32:35], v16, s[4:5] offset:408
	v_mul_lo_u16_e32 v16, 0x44, v69
	v_sub_u16_e32 v70, v85, v16
	v_lshlrev_b32_e32 v16, 4, v70
	v_lshrrev_b32_e32 v71, 22, v25
	global_load_dwordx4 v[36:39], v16, s[4:5] offset:408
	v_mul_lo_u16_e32 v16, 0x44, v71
	v_sub_u16_e32 v72, v30, v16
	v_lshlrev_b32_e32 v16, 4, v72
	global_load_dwordx4 v[52:55], v16, s[4:5] offset:408
	v_add_u32_e32 v16, 0x1fe, v0
	v_mul_u32_u24_sdwa v21, v16, s0 dst_sel:DWORD dst_unused:UNUSED_PAD src0_sel:WORD_0 src1_sel:DWORD
	v_lshrrev_b32_e32 v73, 22, v21
	v_mul_lo_u16_e32 v21, 0x44, v73
	v_sub_u16_e32 v74, v16, v21
	v_lshlrev_b32_e32 v16, 4, v74
	global_load_dwordx4 v[56:59], v16, s[4:5] offset:408
	ds_read2_b32 v[22:23], v22 offset0:62 offset1:232
	ds_read2_b32 v[28:29], v28 offset0:38 offset1:208
	ds_read_b32 v75, v1 offset:7480
	ds_read_b32 v25, v1
	ds_read_b32 v16, v87
	ds_read2_b32 v[60:61], v24 offset0:82 offset1:252
	ds_read2_b32 v[62:63], v20 offset0:58 offset1:228
	ds_read_b32 v30, v26
	v_mul_u32_u24_e32 v10, 0x330, v10
	s_mov_b32 s1, 0x5040100
	s_movk_i32 s0, 0x330
	s_waitcnt lgkmcnt(0)
	s_barrier
	s_waitcnt vmcnt(3)
	v_mul_f32_e32 v20, v23, v33
	v_fma_f32 v31, v19, v32, -v20
	v_mul_f32_e32 v46, v19, v33
	v_mul_f32_e32 v19, v29, v35
	v_fma_f32 v47, v41, v34, -v19
	s_waitcnt vmcnt(2)
	v_mul_f32_e32 v19, v60, v37
	v_fmac_f32_e32 v46, v23, v32
	v_fma_f32 v23, v42, v36, -v19
	v_mul_f32_e32 v19, v62, v39
	v_fma_f32 v45, v48, v38, -v19
	s_waitcnt vmcnt(1)
	v_mul_f32_e32 v19, v61, v53
	v_mul_f32_e32 v51, v41, v35
	v_fma_f32 v21, v43, v52, -v19
	v_mul_f32_e32 v41, v43, v53
	v_fmac_f32_e32 v51, v29, v34
	v_mul_f32_e32 v19, v63, v55
	s_waitcnt vmcnt(0)
	v_mul_f32_e32 v20, v75, v59
	v_fma_f32 v43, v27, v58, -v20
	v_add_f32_e32 v20, v65, v31
	v_add_f32_e32 v26, v20, v47
	v_add_f32_e32 v20, v31, v47
	v_mul_f32_e32 v44, v42, v37
	v_fma_f32 v42, v49, v54, -v19
	v_mul_f32_e32 v19, v28, v57
	v_fmac_f32_e32 v65, -0.5, v20
	v_sub_f32_e32 v20, v46, v51
	v_mul_f32_e32 v50, v48, v39
	v_mul_f32_e32 v48, v49, v55
	v_fma_f32 v19, v40, v56, -v19
	v_mul_f32_e32 v40, v40, v57
	v_mul_f32_e32 v49, v27, v59
	v_fmamk_f32 v27, v20, 0x3f5db3d7, v65
	v_fmac_f32_e32 v65, 0xbf5db3d7, v20
	v_add_f32_e32 v20, v66, v23
	v_fmac_f32_e32 v44, v60, v36
	v_fmac_f32_e32 v50, v62, v38
	;; [unrolled: 1-line block ×3, first 2 shown]
	v_add_f32_e32 v28, v20, v45
	v_add_f32_e32 v20, v23, v45
	v_fmac_f32_e32 v66, -0.5, v20
	v_sub_f32_e32 v20, v44, v50
	v_fmamk_f32 v29, v20, 0x3f5db3d7, v66
	v_fmac_f32_e32 v66, 0xbf5db3d7, v20
	v_add_f32_e32 v20, v67, v21
	v_fmac_f32_e32 v41, v61, v52
	v_fmac_f32_e32 v48, v63, v54
	v_add_f32_e32 v32, v20, v42
	v_add_f32_e32 v20, v21, v42
	v_fmac_f32_e32 v67, -0.5, v20
	v_sub_f32_e32 v20, v41, v48
	v_fmamk_f32 v33, v20, 0x3f5db3d7, v67
	v_fmac_f32_e32 v67, 0xbf5db3d7, v20
	v_add_f32_e32 v20, v18, v19
	v_fmac_f32_e32 v49, v75, v58
	v_add_f32_e32 v34, v20, v43
	v_add_f32_e32 v20, v19, v43
	v_fmac_f32_e32 v18, -0.5, v20
	v_sub_f32_e32 v35, v40, v49
	v_fmamk_f32 v20, v35, 0x3f5db3d7, v18
	v_fmac_f32_e32 v18, 0xbf5db3d7, v35
	v_lshlrev_b32_sdwa v35, v64, v68 dst_sel:DWORD dst_unused:UNUSED_PAD src0_sel:DWORD src1_sel:BYTE_0
	v_add3_u32 v52, 0, v10, v35
	v_perm_b32 v10, v71, v69, s1
	v_pk_mul_lo_u16 v10, v10, s0 op_sel_hi:[1,0]
	ds_write2_b32 v52, v26, v27 offset1:68
	ds_write_b32 v52, v65 offset:544
	v_and_b32_e32 v26, 0xfff0, v10
	v_lshlrev_b32_e32 v27, 2, v70
	v_add3_u32 v53, 0, v26, v27
	v_lshrrev_b32_e32 v10, 16, v10
	v_lshlrev_b32_e32 v26, 2, v72
	v_add3_u32 v54, 0, v10, v26
	v_mul_u32_u24_e32 v10, 0x330, v73
	v_lshlrev_b32_e32 v26, 2, v74
	v_add3_u32 v55, 0, v10, v26
	v_add_u32_e32 v10, 0x600, v1
	ds_write2_b32 v53, v28, v29 offset1:68
	ds_write_b32 v53, v66 offset:544
	ds_write2_b32 v54, v32, v33 offset1:68
	ds_write_b32 v54, v67 offset:544
	;; [unrolled: 2-line block ×3, first 2 shown]
	s_waitcnt lgkmcnt(0)
	s_barrier
	ds_read2_b32 v[28:29], v1 offset1:204
	ds_read2_b32 v[32:33], v10 offset0:24 offset1:228
	ds_read2_b32 v[34:35], v24 offset0:48 offset1:252
	v_add_u32_e32 v10, 0x1300, v1
	ds_read2_b32 v[36:37], v10 offset0:8 offset1:212
	v_add_u32_e32 v10, 0x1900, v1
	ds_read2_b32 v[38:39], v10 offset0:32 offset1:236
	v_cmp_gt_u32_e64 s[0:1], 34, v0
	s_and_saveexec_b64 s[8:9], s[2:3]
	s_xor_b64 s[8:9], exec, s[8:9]
	s_or_saveexec_b64 s[8:9], s[8:9]
                                        ; implicit-def: $vgpr24
                                        ; implicit-def: $vgpr27
	s_xor_b64 exec, exec, s[8:9]
	s_cbranch_execz .LBB0_17
; %bb.16:
	v_add_u32_e32 v6, 0x580, v1
	ds_read2_b32 v[10:11], v6 offset0:22 offset1:226
	v_add_u32_e32 v6, 0xc00, v1
	ds_read2_b32 v[8:9], v6 offset0:14 offset1:218
	v_add_u32_e32 v6, 0x1200, v1
	v_add_u32_e32 v18, 0x1880, v1
	ds_read2_b32 v[6:7], v6 offset0:38 offset1:242
	ds_read2_b32 v[26:27], v18 offset0:30 offset1:234
	ds_read_b32 v20, v87
	ds_read_b32 v24, v1 offset:8024
	s_waitcnt lgkmcnt(5)
	v_mov_b32_e32 v18, v10
.LBB0_17:
	s_or_b64 exec, exec, s[8:9]
	v_add_f32_e32 v10, v25, v46
	v_add_f32_e32 v46, v46, v51
	v_fmac_f32_e32 v25, -0.5, v46
	v_sub_f32_e32 v31, v31, v47
	v_fmamk_f32 v46, v31, 0xbf5db3d7, v25
	v_fmac_f32_e32 v25, 0x3f5db3d7, v31
	v_add_f32_e32 v31, v16, v44
	v_add_f32_e32 v44, v44, v50
	v_fmac_f32_e32 v16, -0.5, v44
	v_sub_f32_e32 v23, v23, v45
	v_fmamk_f32 v44, v23, 0xbf5db3d7, v16
	v_fmac_f32_e32 v16, 0x3f5db3d7, v23
	;; [unrolled: 6-line block ×3, first 2 shown]
	v_add_f32_e32 v21, v22, v40
	v_add_f32_e32 v42, v21, v49
	;; [unrolled: 1-line block ×4, first 2 shown]
	v_fmac_f32_e32 v22, -0.5, v21
	v_sub_f32_e32 v19, v19, v43
	v_add_f32_e32 v31, v31, v50
	v_add_f32_e32 v23, v23, v48
	v_fmamk_f32 v21, v19, 0xbf5db3d7, v22
	v_fmac_f32_e32 v22, 0x3f5db3d7, v19
	s_waitcnt lgkmcnt(0)
	s_barrier
	ds_write2_b32 v52, v10, v46 offset1:68
	ds_write_b32 v52, v25 offset:544
	ds_write2_b32 v53, v31, v44 offset1:68
	ds_write_b32 v53, v16 offset:544
	;; [unrolled: 2-line block ×4, first 2 shown]
	v_add_u32_e32 v10, 0x600, v1
	s_waitcnt lgkmcnt(0)
	s_barrier
	ds_read2_b32 v[40:41], v10 offset0:24 offset1:228
	v_add_u32_e32 v10, 0xc00, v1
	ds_read2_b32 v[42:43], v10 offset0:48 offset1:252
	v_add_u32_e32 v10, 0x1300, v1
	;; [unrolled: 2-line block ×3, first 2 shown]
	ds_read2_b32 v[48:49], v1 offset1:204
	ds_read2_b32 v[46:47], v10 offset0:32 offset1:236
	s_and_saveexec_b64 s[8:9], s[2:3]
	s_xor_b64 s[2:3], exec, s[8:9]
                                        ; implicit-def: $vgpr30
; %bb.18:
                                        ; implicit-def: $vgpr87
                                        ; implicit-def: $vgpr1
; %bb.19:
	s_or_saveexec_b64 s[2:3], s[2:3]
                                        ; implicit-def: $vgpr10
                                        ; implicit-def: $vgpr31
	s_xor_b64 exec, exec, s[2:3]
	s_cbranch_execz .LBB0_21
; %bb.20:
	v_add_u32_e32 v10, 0x580, v1
	ds_read2_b32 v[16:17], v10 offset0:22 offset1:226
	v_add_u32_e32 v10, 0xc00, v1
	ds_read2_b32 v[14:15], v10 offset0:14 offset1:218
	;; [unrolled: 2-line block ×4, first 2 shown]
	ds_read_b32 v21, v87
	ds_read_b32 v10, v1 offset:8024
	s_waitcnt lgkmcnt(5)
	v_mov_b32_e32 v22, v16
	s_or_b64 exec, exec, s[2:3]
	s_and_saveexec_b64 s[2:3], vcc
	s_cbranch_execz .LBB0_24
	s_branch .LBB0_22
.LBB0_21:
	s_or_b64 exec, exec, s[2:3]
	s_and_saveexec_b64 s[2:3], vcc
	s_cbranch_execz .LBB0_24
.LBB0_22:
	v_mul_u32_u24_e32 v1, 9, v0
	v_lshlrev_b32_e32 v1, 3, v1
	global_load_dwordx4 v[50:53], v1, s[4:5] offset:1512
	global_load_dwordx4 v[54:57], v1, s[4:5] offset:1496
	;; [unrolled: 1-line block ×4, first 2 shown]
	global_load_dwordx2 v[66:67], v1, s[4:5] offset:1560
	v_mul_lo_u32 v19, s7, v4
	v_mul_lo_u32 v23, s6, v5
	v_mad_u64_u32 v[4:5], s[2:3], s6, v4, 0
	v_add3_u32 v5, v5, v23, v19
	v_lshl_add_u64 v[4:5], v[4:5], 3, s[10:11]
	s_waitcnt lgkmcnt(4)
	v_mov_b32_e32 v16, v41
	s_waitcnt lgkmcnt(3)
	v_mov_b32_e32 v72, v43
	;; [unrolled: 2-line block ×3, first 2 shown]
	v_mov_b32_e32 v92, v29
	v_mov_b32_e32 v94, v29
	;; [unrolled: 1-line block ×3, first 2 shown]
	v_lshl_add_u64 v[2:3], v[2:3], 3, v[4:5]
	v_mov_b32_e32 v68, v33
	v_mov_b32_e32 v70, v33
	;; [unrolled: 1-line block ×4, first 2 shown]
	s_waitcnt lgkmcnt(0)
	v_mov_b32_e32 v78, v47
	v_mov_b32_e32 v84, v45
	;; [unrolled: 1-line block ×6, first 2 shown]
	s_mov_b32 s2, 0xbf737871
	s_mov_b32 s3, 0x3f737871
	;; [unrolled: 1-line block ×3, first 2 shown]
	v_mov_b32_e32 v1, 0
	s_mov_b32 s12, s3
	s_mov_b32 s7, 0x3f167918
	v_lshl_add_u64 v[2:3], v[0:1], 3, v[2:3]
	s_mov_b32 s14, s7
	s_mov_b32 s8, 0x3e9e377a
	;; [unrolled: 1-line block ×3, first 2 shown]
	s_waitcnt vmcnt(4)
	v_mov_b32_e32 v4, v53
	v_mov_b32_e32 v5, v52
	s_waitcnt vmcnt(3)
	v_mov_b32_e32 v48, v57
	v_mov_b32_e32 v49, v56
	;; [unrolled: 3-line block ×4, first 2 shown]
	v_pk_mul_f32 v[100:101], v[16:17], v[50:51] op_sel_hi:[0,1]
	v_pk_mul_f32 v[72:73], v[72:73], v[58:59] op_sel_hi:[0,1]
	;; [unrolled: 1-line block ×7, first 2 shown]
	v_pk_fma_f32 v[46:47], v[68:69], v[50:51], v[100:101] op_sel:[0,0,1] op_sel_hi:[1,1,0] neg_lo:[0,0,1] neg_hi:[0,0,1]
	v_pk_fma_f32 v[48:49], v[70:71], v[50:51], v[100:101] op_sel:[0,0,1] op_sel_hi:[0,1,0]
	v_pk_fma_f32 v[50:51], v[74:75], v[58:59], v[72:73] op_sel:[0,0,1] op_sel_hi:[1,1,0] neg_lo:[0,0,1] neg_hi:[0,0,1]
	v_pk_fma_f32 v[58:59], v[76:77], v[58:59], v[72:73] op_sel:[0,0,1] op_sel_hi:[0,1,0]
	;; [unrolled: 2-line block ×3, first 2 shown]
	v_pk_fma_f32 v[74:75], v[34:35], v[52:53], v[4:5] neg_lo:[0,0,1] neg_hi:[0,0,1]
	v_pk_fma_f32 v[4:5], v[34:35], v[52:53], v[4:5] op_sel_hi:[0,1,1]
	v_pk_fma_f32 v[34:35], v[32:33], v[56:57], v[40:41] neg_lo:[0,0,1] neg_hi:[0,0,1]
	v_pk_fma_f32 v[32:33], v[32:33], v[56:57], v[40:41] op_sel_hi:[0,1,1]
	v_pk_mul_f32 v[102:103], v[84:85], v[62:63] op_sel_hi:[0,1]
	v_mov_b32_e32 v47, v49
	v_mov_b32_e32 v73, v55
	;; [unrolled: 1-line block ×3, first 2 shown]
	s_waitcnt vmcnt(0)
	v_pk_mul_f32 v[78:79], v[78:79], v[66:67] op_sel_hi:[0,1]
	v_pk_fma_f32 v[70:71], v[86:87], v[62:63], v[102:103] op_sel:[0,0,1] op_sel_hi:[1,1,0] neg_lo:[0,0,1] neg_hi:[0,0,1]
	v_pk_fma_f32 v[62:63], v[88:89], v[62:63], v[102:103] op_sel:[0,0,1] op_sel_hi:[0,1,0]
	v_pk_fma_f32 v[40:41], v[36:37], v[60:61], v[42:43] neg_lo:[0,0,1] neg_hi:[0,0,1]
	v_pk_fma_f32 v[36:37], v[36:37], v[60:61], v[42:43] op_sel_hi:[0,1,1]
	v_pk_fma_f32 v[42:43], v[38:39], v[64:65], v[44:45] neg_lo:[0,0,1] neg_hi:[0,0,1]
	v_pk_fma_f32 v[38:39], v[38:39], v[64:65], v[44:45] op_sel_hi:[0,1,1]
	v_mov_b32_e32 v51, v59
	v_mov_b32_e32 v75, v5
	v_pk_add_f32 v[4:5], v[46:47], v[72:73]
	v_pk_add_f32 v[32:33], v[28:29], v[34:35]
	v_pk_fma_f32 v[68:69], v[80:81], v[66:67], v[78:79] op_sel:[0,0,1] op_sel_hi:[1,1,0] neg_lo:[0,0,1] neg_hi:[0,0,1]
	v_pk_fma_f32 v[66:67], v[82:83], v[66:67], v[78:79] op_sel:[0,0,1] op_sel_hi:[0,1,0]
	v_mov_b32_e32 v71, v63
	v_mov_b32_e32 v41, v37
	;; [unrolled: 1-line block ×3, first 2 shown]
	v_pk_add_f32 v[4:5], v[50:51], v[4:5]
	v_pk_add_f32 v[32:33], v[32:33], v[74:75]
	v_mov_b32_e32 v69, v67
	v_pk_add_f32 v[4:5], v[70:71], v[4:5]
	v_pk_add_f32 v[32:33], v[32:33], v[40:41]
	v_pk_add_f32 v[54:55], v[34:35], v[74:75] neg_lo:[0,1] neg_hi:[0,1]
	v_pk_add_f32 v[56:57], v[42:43], v[40:41] neg_lo:[0,1] neg_hi:[0,1]
	v_pk_add_f32 v[44:45], v[68:69], v[4:5]
	v_pk_add_f32 v[32:33], v[42:43], v[32:33]
	;; [unrolled: 1-line block ×3, first 2 shown]
	v_pk_add_f32 v[56:57], v[46:47], v[68:69] neg_lo:[0,1] neg_hi:[0,1]
	v_pk_add_f32 v[60:61], v[50:51], v[70:71]
	v_pk_add_f32 v[36:37], v[74:75], v[40:41]
	v_pk_add_f32 v[38:39], v[34:35], v[42:43] neg_lo:[0,1] neg_hi:[0,1]
	v_pk_add_f32 v[4:5], v[32:33], v[44:45]
	v_pk_mul_f32 v[58:59], v[56:57], s[12:13] op_sel_hi:[1,0]
	v_pk_fma_f32 v[60:61], v[60:61], 0.5, v[72:73] op_sel_hi:[1,0,1] neg_lo:[1,0,0] neg_hi:[1,0,0]
	v_pk_add_f32 v[62:63], v[50:51], v[70:71] neg_lo:[0,1] neg_hi:[0,1]
	v_pk_add_f32 v[66:67], v[46:47], v[50:51] neg_lo:[0,1] neg_hi:[0,1]
	;; [unrolled: 1-line block ×3, first 2 shown]
	v_pk_fma_f32 v[36:37], v[36:37], 0.5, v[28:29] op_sel_hi:[1,0,1] neg_lo:[1,0,0] neg_hi:[1,0,0]
	global_store_dwordx2 v[2:3], v[4:5], off
	v_pk_mul_f32 v[4:5], v[38:39], s[12:13] op_sel_hi:[1,0]
	v_pk_add_f32 v[48:49], v[74:75], v[40:41] neg_lo:[0,1] neg_hi:[0,1]
	v_pk_mul_f32 v[64:65], v[62:63], s[14:15] op_sel_hi:[1,0]
	v_pk_add_f32 v[66:67], v[66:67], v[76:77]
	v_pk_add_f32 v[76:77], v[60:61], v[58:59] op_sel:[0,1] op_sel_hi:[1,0]
	v_pk_add_f32 v[58:59], v[60:61], v[58:59] op_sel:[0,1] op_sel_hi:[1,0] neg_lo:[0,1] neg_hi:[0,1]
	v_pk_mul_f32 v[52:53], v[48:49], s[14:15] op_sel_hi:[1,0]
	v_pk_add_f32 v[58:59], v[58:59], v[64:65] op_sel:[0,1] op_sel_hi:[1,0] neg_lo:[0,1] neg_hi:[0,1]
	v_pk_add_f32 v[60:61], v[76:77], v[64:65] op_sel:[0,1] op_sel_hi:[1,0]
	v_pk_add_f32 v[76:77], v[36:37], v[4:5] op_sel:[0,1] op_sel_hi:[1,0]
	v_pk_add_f32 v[4:5], v[36:37], v[4:5] op_sel:[0,1] op_sel_hi:[1,0] neg_lo:[0,1] neg_hi:[0,1]
	v_mov_b32_e32 v64, v60
	v_mov_b32_e32 v65, v59
	v_pk_add_f32 v[36:37], v[4:5], v[52:53] op_sel:[0,1] op_sel_hi:[1,0] neg_lo:[0,1] neg_hi:[0,1]
	v_pk_add_f32 v[52:53], v[76:77], v[52:53] op_sel:[0,1] op_sel_hi:[1,0]
	v_pk_fma_f32 v[64:65], v[66:67], s[8:9], v[64:65] op_sel_hi:[1,0,1]
	v_mov_b32_e32 v4, v52
	v_mov_b32_e32 v5, v37
	v_pk_fma_f32 v[76:77], v[54:55], s[8:9], v[4:5] op_sel_hi:[1,0,1]
	v_pk_mul_f32 v[4:5], v[64:65], s[14:15] op_sel_hi:[1,0]
	v_pk_add_f32 v[40:41], v[40:41], v[42:43] neg_lo:[0,1] neg_hi:[0,1]
	v_pk_fma_f32 v[78:79], v[64:65], s[10:11], v[4:5] op_sel:[0,0,1] op_sel_hi:[1,0,0]
	v_pk_fma_f32 v[4:5], v[64:65], s[10:11], v[4:5] op_sel:[0,0,1] op_sel_hi:[1,0,0] neg_lo:[0,0,1] neg_hi:[0,0,1]
	v_pk_mul_f32 v[38:39], v[38:39], s[14:15] op_sel_hi:[1,0]
	v_mov_b32_e32 v79, v5
	v_pk_add_f32 v[4:5], v[76:77], v[78:79]
	global_store_dwordx2 v[2:3], v[4:5], off offset:1632
	v_pk_add_f32 v[4:5], v[50:51], v[46:47] neg_lo:[0,1] neg_hi:[0,1]
	v_pk_add_f32 v[50:51], v[70:71], v[68:69] neg_lo:[0,1] neg_hi:[0,1]
	v_pk_add_f32 v[46:47], v[46:47], v[68:69]
	v_pk_add_f32 v[4:5], v[4:5], v[50:51]
	v_pk_fma_f32 v[46:47], v[46:47], 0.5, v[72:73] op_sel_hi:[1,0,1] neg_lo:[1,0,0] neg_hi:[1,0,0]
	v_pk_add_f32 v[50:51], v[74:75], v[34:35] neg_lo:[0,1] neg_hi:[0,1]
	v_pk_add_f32 v[34:35], v[34:35], v[42:43]
	v_pk_mul_f32 v[42:43], v[62:63], s[12:13] op_sel_hi:[1,0]
	v_pk_add_f32 v[40:41], v[50:51], v[40:41]
	v_pk_fma_f32 v[28:29], v[34:35], 0.5, v[28:29] op_sel_hi:[1,0,1] neg_lo:[1,0,0] neg_hi:[1,0,0]
	v_pk_mul_f32 v[34:35], v[48:49], s[12:13] op_sel_hi:[1,0]
	v_pk_mul_f32 v[48:49], v[56:57], s[14:15] op_sel_hi:[1,0]
	v_pk_add_f32 v[50:51], v[46:47], v[42:43] op_sel:[0,1] op_sel_hi:[1,0] neg_lo:[0,1] neg_hi:[0,1]
	v_pk_add_f32 v[42:43], v[46:47], v[42:43] op_sel:[0,1] op_sel_hi:[1,0]
	v_pk_add_f32 v[46:47], v[50:51], v[48:49] op_sel:[0,1] op_sel_hi:[1,0]
	v_pk_add_f32 v[42:43], v[42:43], v[48:49] op_sel:[0,1] op_sel_hi:[1,0] neg_lo:[0,1] neg_hi:[0,1]
	v_mov_b32_e32 v48, v46
	v_mov_b32_e32 v49, v43
	v_pk_add_f32 v[50:51], v[28:29], v[34:35] op_sel:[0,1] op_sel_hi:[1,0] neg_lo:[0,1] neg_hi:[0,1]
	v_pk_add_f32 v[28:29], v[28:29], v[34:35] op_sel:[0,1] op_sel_hi:[1,0]
	v_pk_fma_f32 v[48:49], v[4:5], s[8:9], v[48:49] op_sel_hi:[1,0,1]
	v_pk_add_f32 v[28:29], v[28:29], v[38:39] op_sel:[0,1] op_sel_hi:[1,0] neg_lo:[0,1] neg_hi:[0,1]
	v_pk_add_f32 v[34:35], v[50:51], v[38:39] op_sel:[0,1] op_sel_hi:[1,0]
	v_mov_b32_e32 v43, v47
	v_mov_b32_e32 v38, v34
	;; [unrolled: 1-line block ×3, first 2 shown]
	v_pk_mul_f32 v[50:51], v[48:49], s[12:13] op_sel_hi:[1,0]
	v_pk_fma_f32 v[4:5], v[4:5], s[8:9], v[42:43] op_sel_hi:[1,0,1]
	v_mov_b32_e32 v29, v35
	v_pk_fma_f32 v[38:39], v[40:41], s[8:9], v[38:39] op_sel_hi:[1,0,1]
	v_pk_fma_f32 v[56:57], v[48:49], s[8:9], v[50:51] op_sel:[0,0,1] op_sel_hi:[1,0,0]
	v_pk_fma_f32 v[48:49], v[48:49], s[8:9], v[50:51] op_sel:[0,0,1] op_sel_hi:[1,0,0] neg_lo:[0,0,1] neg_hi:[0,0,1]
	v_pk_fma_f32 v[28:29], v[40:41], s[8:9], v[28:29] op_sel_hi:[1,0,1]
	v_pk_mul_f32 v[34:35], v[4:5], s[8:9] op_sel_hi:[1,0]
	s_movk_i32 s9, 0x1000
	v_pk_fma_f32 v[34:35], v[4:5], s[2:3], v[34:35] op_sel:[0,0,1] op_sel_hi:[1,1,0] neg_lo:[0,0,1] neg_hi:[0,0,1]
	v_add_co_u32_e32 v4, vcc, s9, v2
	v_pk_add_f32 v[40:41], v[28:29], v[34:35] op_sel:[0,1] op_sel_hi:[1,0]
	s_nop 0
	v_addc_co_u32_e32 v5, vcc, 0, v3, vcc
	v_mov_b32_e32 v59, v61
	global_store_dwordx2 v[4:5], v[40:41], off offset:800
	v_pk_fma_f32 v[40:41], v[66:67], s[8:9], v[58:59] op_sel_hi:[1,0,1]
	v_mov_b32_e32 v37, v53
	v_pk_mul_f32 v[42:43], v[40:41], s[10:11] op_sel_hi:[1,0]
	v_pk_fma_f32 v[36:37], v[54:55], s[8:9], v[36:37] op_sel_hi:[1,0,1]
	v_pk_fma_f32 v[40:41], v[40:41], s[6:7], v[42:43] op_sel:[0,0,1] op_sel_hi:[1,1,0] neg_lo:[0,0,1] neg_hi:[0,0,1]
	s_movk_i32 s9, 0x2000
	v_pk_add_f32 v[42:43], v[36:37], v[40:41] op_sel:[0,1] op_sel_hi:[1,0]
	global_store_dwordx2 v[4:5], v[42:43], off offset:2432
	v_pk_add_f32 v[32:33], v[32:33], v[44:45] neg_lo:[0,1] neg_hi:[0,1]
	v_add_co_u32_e32 v42, vcc, s9, v2
	v_mov_b32_e32 v57, v49
	global_store_dwordx2 v[4:5], v[32:33], off offset:4064
	v_pk_add_f32 v[32:33], v[76:77], v[78:79] neg_lo:[0,1] neg_hi:[0,1]
	v_addc_co_u32_e32 v43, vcc, 0, v3, vcc
	global_store_dwordx2 v[42:43], v[32:33], off offset:1600
	v_pk_add_f32 v[32:33], v[38:39], v[56:57] neg_lo:[0,1] neg_hi:[0,1]
	global_store_dwordx2 v[42:43], v[32:33], off offset:3232
	v_add_co_u32_e32 v32, vcc, 0x3000, v2
	v_pk_add_f32 v[28:29], v[28:29], v[34:35] op_sel:[0,1] op_sel_hi:[1,0] neg_lo:[0,1] neg_hi:[0,1]
	s_nop 0
	v_addc_co_u32_e32 v33, vcc, 0, v3, vcc
	v_pk_add_f32 v[48:49], v[38:39], v[56:57]
	global_store_dwordx2 v[32:33], v[28:29], off offset:768
	v_pk_add_f32 v[28:29], v[36:37], v[40:41] op_sel:[0,1] op_sel_hi:[1,0] neg_lo:[0,1] neg_hi:[0,1]
	global_store_dwordx2 v[2:3], v[48:49], off offset:3264
	global_store_dwordx2 v[32:33], v[28:29], off offset:2400
	s_and_b64 exec, exec, s[0:1]
	s_cbranch_execz .LBB0_24
; %bb.23:
	v_subrev_u32_e32 v0, 34, v0
	v_cndmask_b32_e64 v0, v0, v85, s[0:1]
	v_mul_i32_i24_e32 v0, 9, v0
	v_lshl_add_u64 v[0:1], v[0:1], 3, s[4:5]
	global_load_dwordx4 v[32:35], v[0:1], off offset:1496
	global_load_dwordx4 v[36:39], v[0:1], off offset:1512
	;; [unrolled: 1-line block ×4, first 2 shown]
	global_load_dwordx2 v[28:29], v[0:1], off offset:1560
	v_mov_b32_e32 v0, v17
	v_mov_b32_e32 v50, v31
	;; [unrolled: 1-line block ×6, first 2 shown]
	s_mov_b32 s0, s3
	s_mov_b32 s4, s7
	s_waitcnt vmcnt(4)
	v_pk_mul_f32 v[22:23], v[22:23], v[32:33] op_sel_hi:[0,1]
	v_pk_mul_f32 v[0:1], v[0:1], v[34:35] op_sel_hi:[0,1]
	s_waitcnt vmcnt(3)
	v_pk_mul_f32 v[56:57], v[14:15], v[36:37] op_sel_hi:[0,1]
	v_pk_mul_f32 v[14:15], v[14:15], v[38:39] op_sel:[1,0]
	s_waitcnt vmcnt(2)
	v_pk_mul_f32 v[58:59], v[12:13], v[40:41] op_sel_hi:[0,1]
	v_pk_mul_f32 v[12:13], v[12:13], v[42:43] op_sel:[1,0]
	s_waitcnt vmcnt(1)
	v_pk_mul_f32 v[30:31], v[30:31], v[44:45] op_sel_hi:[0,1]
	v_pk_mul_f32 v[50:51], v[50:51], v[46:47] op_sel_hi:[0,1]
	s_waitcnt vmcnt(0)
	v_pk_mul_f32 v[10:11], v[10:11], v[28:29] op_sel_hi:[0,1]
	v_pk_fma_f32 v[60:61], v[18:19], v[32:33], v[22:23] op_sel:[0,0,1] op_sel_hi:[1,1,0] neg_lo:[0,0,1] neg_hi:[0,0,1]
	v_pk_fma_f32 v[18:19], v[18:19], v[32:33], v[22:23] op_sel:[0,0,1] op_sel_hi:[0,1,0]
	v_pk_fma_f32 v[16:17], v[16:17], v[34:35], v[0:1] op_sel:[0,0,1] op_sel_hi:[1,1,0] neg_lo:[0,0,1] neg_hi:[0,0,1]
	v_pk_fma_f32 v[0:1], v[48:49], v[34:35], v[0:1] op_sel:[0,0,1] op_sel_hi:[0,1,0]
	;; [unrolled: 2-line block ×9, first 2 shown]
	v_mov_b32_e32 v17, v1
	v_mov_b32_e32 v23, v33
	;; [unrolled: 1-line block ×9, first 2 shown]
	v_pk_add_f32 v[8:9], v[34:35], v[38:39]
	v_pk_add_f32 v[10:11], v[16:17], v[30:31] neg_lo:[0,1] neg_hi:[0,1]
	v_pk_add_f32 v[24:25], v[16:17], v[34:35] neg_lo:[0,1] neg_hi:[0,1]
	;; [unrolled: 1-line block ×3, first 2 shown]
	v_pk_add_f32 v[28:29], v[14:15], v[12:13]
	v_pk_add_f32 v[32:33], v[22:23], v[42:43] neg_lo:[0,1] neg_hi:[0,1]
	v_pk_add_f32 v[18:19], v[34:35], v[38:39] neg_lo:[0,1] neg_hi:[0,1]
	v_pk_add_f32 v[36:37], v[14:15], v[12:13] neg_lo:[0,1] neg_hi:[0,1]
	v_pk_add_f32 v[40:41], v[22:23], v[14:15] neg_lo:[0,1] neg_hi:[0,1]
	v_pk_add_f32 v[44:45], v[42:43], v[12:13] neg_lo:[0,1] neg_hi:[0,1]
	v_pk_fma_f32 v[8:9], v[8:9], 0.5, v[20:21] op_sel_hi:[1,0,1] neg_lo:[1,0,0] neg_hi:[1,0,0]
	v_pk_mul_f32 v[46:47], v[10:11], s[0:1] op_sel_hi:[1,0]
	v_pk_add_f32 v[24:25], v[24:25], v[26:27]
	v_pk_fma_f32 v[26:27], v[28:29], 0.5, v[60:61] op_sel_hi:[1,0,1] neg_lo:[1,0,0] neg_hi:[1,0,0]
	v_pk_mul_f32 v[28:29], v[32:33], s[0:1] op_sel_hi:[1,0]
	v_pk_mul_f32 v[48:49], v[18:19], s[4:5] op_sel_hi:[1,0]
	;; [unrolled: 1-line block ×3, first 2 shown]
	v_pk_add_f32 v[40:41], v[40:41], v[44:45]
	v_pk_add_f32 v[44:45], v[8:9], v[46:47] op_sel:[0,1] op_sel_hi:[1,0]
	v_pk_add_f32 v[8:9], v[8:9], v[46:47] op_sel:[0,1] op_sel_hi:[1,0] neg_lo:[0,1] neg_hi:[0,1]
	v_pk_add_f32 v[46:47], v[26:27], v[28:29] op_sel:[0,1] op_sel_hi:[1,0]
	v_pk_add_f32 v[26:27], v[26:27], v[28:29] op_sel:[0,1] op_sel_hi:[1,0] neg_lo:[0,1] neg_hi:[0,1]
	;; [unrolled: 2-line block ×3, first 2 shown]
	v_pk_add_f32 v[44:45], v[46:47], v[50:51] op_sel:[0,1] op_sel_hi:[1,0]
	v_pk_add_f32 v[0:1], v[20:21], v[16:17]
	v_mov_b32_e32 v50, v44
	v_mov_b32_e32 v51, v27
	v_pk_add_f32 v[6:7], v[60:61], v[22:23]
	v_pk_add_f32 v[0:1], v[0:1], v[34:35]
	v_pk_fma_f32 v[50:51], v[40:41], s[8:9], v[50:51] op_sel_hi:[1,0,1]
	v_pk_add_f32 v[6:7], v[6:7], v[14:15]
	v_pk_add_f32 v[0:1], v[0:1], v[38:39]
	v_pk_mul_f32 v[52:53], v[50:51], s[4:5] op_sel_hi:[1,0]
	v_pk_add_f32 v[6:7], v[6:7], v[12:13]
	v_pk_add_f32 v[0:1], v[0:1], v[30:31]
	v_pk_fma_f32 v[54:55], v[50:51], s[10:11], v[52:53] op_sel:[0,0,1] op_sel_hi:[1,0,0]
	v_pk_fma_f32 v[50:51], v[50:51], s[10:11], v[52:53] op_sel:[0,0,1] op_sel_hi:[1,0,0] neg_lo:[0,0,1] neg_hi:[0,0,1]
	v_pk_add_f32 v[52:53], v[16:17], v[30:31]
	v_pk_add_f32 v[16:17], v[34:35], v[16:17] neg_lo:[0,1] neg_hi:[0,1]
	v_pk_add_f32 v[30:31], v[38:39], v[30:31] neg_lo:[0,1] neg_hi:[0,1]
	;; [unrolled: 1-line block ×4, first 2 shown]
	v_pk_fma_f32 v[20:21], v[52:53], 0.5, v[20:21] op_sel_hi:[1,0,1] neg_lo:[1,0,0] neg_hi:[1,0,0]
	v_pk_add_f32 v[16:17], v[16:17], v[30:31]
	v_pk_add_f32 v[30:31], v[22:23], v[42:43]
	;; [unrolled: 1-line block ×3, first 2 shown]
	v_pk_mul_f32 v[14:15], v[18:19], s[0:1] op_sel_hi:[1,0]
	v_pk_fma_f32 v[30:31], v[30:31], 0.5, v[60:61] op_sel_hi:[1,0,1] neg_lo:[1,0,0] neg_hi:[1,0,0]
	v_pk_add_f32 v[18:19], v[20:21], v[14:15] op_sel:[0,1] op_sel_hi:[1,0] neg_lo:[0,1] neg_hi:[0,1]
	v_pk_add_f32 v[14:15], v[20:21], v[14:15] op_sel:[0,1] op_sel_hi:[1,0]
	v_pk_mul_f32 v[20:21], v[36:37], s[0:1] op_sel_hi:[1,0]
	v_pk_mul_f32 v[22:23], v[32:33], s[4:5] op_sel_hi:[1,0]
	v_pk_add_f32 v[32:33], v[30:31], v[20:21] op_sel:[0,1] op_sel_hi:[1,0] neg_lo:[0,1] neg_hi:[0,1]
	v_pk_add_f32 v[20:21], v[30:31], v[20:21] op_sel:[0,1] op_sel_hi:[1,0]
	v_pk_mul_f32 v[10:11], v[10:11], s[4:5] op_sel_hi:[1,0]
	v_pk_add_f32 v[20:21], v[20:21], v[22:23] op_sel:[0,1] op_sel_hi:[1,0] neg_lo:[0,1] neg_hi:[0,1]
	v_pk_add_f32 v[22:23], v[32:33], v[22:23] op_sel:[0,1] op_sel_hi:[1,0]
	v_pk_add_f32 v[14:15], v[14:15], v[10:11] op_sel:[0,1] op_sel_hi:[1,0] neg_lo:[0,1] neg_hi:[0,1]
	v_pk_add_f32 v[10:11], v[18:19], v[10:11] op_sel:[0,1] op_sel_hi:[1,0]
	v_mov_b32_e32 v30, v22
	v_mov_b32_e32 v31, v21
	;; [unrolled: 1-line block ×4, first 2 shown]
	v_pk_fma_f32 v[30:31], v[12:13], s[8:9], v[30:31] op_sel_hi:[1,0,1]
	v_mov_b32_e32 v15, v11
	v_mov_b32_e32 v21, v23
	v_mov_b32_e32 v27, v45
	v_pk_add_f32 v[8:9], v[8:9], v[48:49] op_sel:[0,1] op_sel_hi:[1,0] neg_lo:[0,1] neg_hi:[0,1]
	v_pk_fma_f32 v[18:19], v[16:17], s[8:9], v[18:19] op_sel_hi:[1,0,1]
	v_pk_mul_f32 v[32:33], v[30:31], s[0:1] op_sel_hi:[1,0]
	v_pk_fma_f32 v[10:11], v[16:17], s[8:9], v[14:15] op_sel_hi:[1,0,1]
	v_pk_fma_f32 v[12:13], v[12:13], s[8:9], v[20:21] op_sel_hi:[1,0,1]
	;; [unrolled: 1-line block ×3, first 2 shown]
	v_pk_add_f32 v[6:7], v[6:7], v[42:43]
	v_mov_b32_e32 v48, v28
	v_mov_b32_e32 v49, v9
	v_pk_fma_f32 v[34:35], v[30:31], s[8:9], v[32:33] op_sel:[0,0,1] op_sel_hi:[1,0,0]
	v_pk_fma_f32 v[30:31], v[30:31], s[8:9], v[32:33] op_sel:[0,0,1] op_sel_hi:[1,0,0] neg_lo:[0,0,1] neg_hi:[0,0,1]
	v_pk_mul_f32 v[14:15], v[12:13], s[8:9] op_sel_hi:[1,0]
	v_mov_b32_e32 v9, v29
	v_pk_mul_f32 v[20:21], v[16:17], s[10:11] op_sel_hi:[1,0]
	v_pk_add_f32 v[46:47], v[0:1], v[6:7]
	v_pk_fma_f32 v[48:49], v[24:25], s[8:9], v[48:49] op_sel_hi:[1,0,1]
	v_mov_b32_e32 v55, v51
	v_mov_b32_e32 v35, v31
	v_pk_fma_f32 v[12:13], v[12:13], s[2:3], v[14:15] op_sel:[0,0,1] op_sel_hi:[1,1,0] neg_lo:[0,0,1] neg_hi:[0,0,1]
	v_pk_fma_f32 v[8:9], v[24:25], s[8:9], v[8:9] op_sel_hi:[1,0,1]
	v_pk_fma_f32 v[16:17], v[16:17], s[6:7], v[20:21] op_sel:[0,0,1] op_sel_hi:[1,1,0] neg_lo:[0,0,1] neg_hi:[0,0,1]
	v_pk_add_f32 v[50:51], v[48:49], v[54:55]
	v_pk_add_f32 v[30:31], v[18:19], v[34:35]
	v_pk_add_f32 v[14:15], v[10:11], v[12:13] op_sel:[0,1] op_sel_hi:[1,0]
	v_pk_add_f32 v[20:21], v[8:9], v[16:17] op_sel:[0,1] op_sel_hi:[1,0]
	global_store_dwordx2 v[2:3], v[46:47], off offset:1360
	global_store_dwordx2 v[2:3], v[50:51], off offset:2992
	;; [unrolled: 1-line block ×5, first 2 shown]
	v_add_co_u32_e32 v4, vcc, 0x2000, v2
	v_pk_add_f32 v[0:1], v[0:1], v[6:7] neg_lo:[0,1] neg_hi:[0,1]
	s_nop 0
	v_addc_co_u32_e32 v5, vcc, 0, v3, vcc
	v_pk_add_f32 v[6:7], v[48:49], v[54:55] neg_lo:[0,1] neg_hi:[0,1]
	global_store_dwordx2 v[4:5], v[0:1], off offset:1328
	global_store_dwordx2 v[4:5], v[6:7], off offset:2960
	v_add_co_u32_e32 v0, vcc, 0x3000, v2
	v_pk_add_f32 v[18:19], v[18:19], v[34:35] neg_lo:[0,1] neg_hi:[0,1]
	s_nop 0
	v_addc_co_u32_e32 v1, vcc, 0, v3, vcc
	v_pk_add_f32 v[10:11], v[10:11], v[12:13] op_sel:[0,1] op_sel_hi:[1,0] neg_lo:[0,1] neg_hi:[0,1]
	v_pk_add_f32 v[8:9], v[8:9], v[16:17] op_sel:[0,1] op_sel_hi:[1,0] neg_lo:[0,1] neg_hi:[0,1]
	global_store_dwordx2 v[0:1], v[18:19], off offset:496
	global_store_dwordx2 v[0:1], v[10:11], off offset:2128
	;; [unrolled: 1-line block ×3, first 2 shown]
	s_endpgm
.LBB0_24:
	s_endpgm
	.section	.rodata,"a",@progbits
	.p2align	6, 0x0
	.amdhsa_kernel fft_rtc_fwd_len2040_factors_17_4_3_10_wgs_170_tpt_170_halfLds_sp_op_CI_CI_unitstride_sbrr_dirReg
		.amdhsa_group_segment_fixed_size 0
		.amdhsa_private_segment_fixed_size 0
		.amdhsa_kernarg_size 104
		.amdhsa_user_sgpr_count 2
		.amdhsa_user_sgpr_dispatch_ptr 0
		.amdhsa_user_sgpr_queue_ptr 0
		.amdhsa_user_sgpr_kernarg_segment_ptr 1
		.amdhsa_user_sgpr_dispatch_id 0
		.amdhsa_user_sgpr_kernarg_preload_length 0
		.amdhsa_user_sgpr_kernarg_preload_offset 0
		.amdhsa_user_sgpr_private_segment_size 0
		.amdhsa_uses_dynamic_stack 0
		.amdhsa_enable_private_segment 0
		.amdhsa_system_sgpr_workgroup_id_x 1
		.amdhsa_system_sgpr_workgroup_id_y 0
		.amdhsa_system_sgpr_workgroup_id_z 0
		.amdhsa_system_sgpr_workgroup_info 0
		.amdhsa_system_vgpr_workitem_id 0
		.amdhsa_next_free_vgpr 138
		.amdhsa_next_free_sgpr 94
		.amdhsa_accum_offset 140
		.amdhsa_reserve_vcc 1
		.amdhsa_float_round_mode_32 0
		.amdhsa_float_round_mode_16_64 0
		.amdhsa_float_denorm_mode_32 3
		.amdhsa_float_denorm_mode_16_64 3
		.amdhsa_dx10_clamp 1
		.amdhsa_ieee_mode 1
		.amdhsa_fp16_overflow 0
		.amdhsa_tg_split 0
		.amdhsa_exception_fp_ieee_invalid_op 0
		.amdhsa_exception_fp_denorm_src 0
		.amdhsa_exception_fp_ieee_div_zero 0
		.amdhsa_exception_fp_ieee_overflow 0
		.amdhsa_exception_fp_ieee_underflow 0
		.amdhsa_exception_fp_ieee_inexact 0
		.amdhsa_exception_int_div_zero 0
	.end_amdhsa_kernel
	.text
.Lfunc_end0:
	.size	fft_rtc_fwd_len2040_factors_17_4_3_10_wgs_170_tpt_170_halfLds_sp_op_CI_CI_unitstride_sbrr_dirReg, .Lfunc_end0-fft_rtc_fwd_len2040_factors_17_4_3_10_wgs_170_tpt_170_halfLds_sp_op_CI_CI_unitstride_sbrr_dirReg
                                        ; -- End function
	.section	.AMDGPU.csdata,"",@progbits
; Kernel info:
; codeLenInByte = 12384
; NumSgprs: 100
; NumVgprs: 138
; NumAgprs: 0
; TotalNumVgprs: 138
; ScratchSize: 0
; MemoryBound: 0
; FloatMode: 240
; IeeeMode: 1
; LDSByteSize: 0 bytes/workgroup (compile time only)
; SGPRBlocks: 12
; VGPRBlocks: 17
; NumSGPRsForWavesPerEU: 100
; NumVGPRsForWavesPerEU: 138
; AccumOffset: 140
; Occupancy: 3
; WaveLimiterHint : 1
; COMPUTE_PGM_RSRC2:SCRATCH_EN: 0
; COMPUTE_PGM_RSRC2:USER_SGPR: 2
; COMPUTE_PGM_RSRC2:TRAP_HANDLER: 0
; COMPUTE_PGM_RSRC2:TGID_X_EN: 1
; COMPUTE_PGM_RSRC2:TGID_Y_EN: 0
; COMPUTE_PGM_RSRC2:TGID_Z_EN: 0
; COMPUTE_PGM_RSRC2:TIDIG_COMP_CNT: 0
; COMPUTE_PGM_RSRC3_GFX90A:ACCUM_OFFSET: 34
; COMPUTE_PGM_RSRC3_GFX90A:TG_SPLIT: 0
	.text
	.p2alignl 6, 3212836864
	.fill 256, 4, 3212836864
	.type	__hip_cuid_b8ab570d25542eb0,@object ; @__hip_cuid_b8ab570d25542eb0
	.section	.bss,"aw",@nobits
	.globl	__hip_cuid_b8ab570d25542eb0
__hip_cuid_b8ab570d25542eb0:
	.byte	0                               ; 0x0
	.size	__hip_cuid_b8ab570d25542eb0, 1

	.ident	"AMD clang version 19.0.0git (https://github.com/RadeonOpenCompute/llvm-project roc-6.4.0 25133 c7fe45cf4b819c5991fe208aaa96edf142730f1d)"
	.section	".note.GNU-stack","",@progbits
	.addrsig
	.addrsig_sym __hip_cuid_b8ab570d25542eb0
	.amdgpu_metadata
---
amdhsa.kernels:
  - .agpr_count:     0
    .args:
      - .actual_access:  read_only
        .address_space:  global
        .offset:         0
        .size:           8
        .value_kind:     global_buffer
      - .offset:         8
        .size:           8
        .value_kind:     by_value
      - .actual_access:  read_only
        .address_space:  global
        .offset:         16
        .size:           8
        .value_kind:     global_buffer
      - .actual_access:  read_only
        .address_space:  global
        .offset:         24
        .size:           8
        .value_kind:     global_buffer
      - .actual_access:  read_only
        .address_space:  global
        .offset:         32
        .size:           8
        .value_kind:     global_buffer
      - .offset:         40
        .size:           8
        .value_kind:     by_value
      - .actual_access:  read_only
        .address_space:  global
        .offset:         48
        .size:           8
        .value_kind:     global_buffer
      - .actual_access:  read_only
        .address_space:  global
        .offset:         56
        .size:           8
        .value_kind:     global_buffer
      - .offset:         64
        .size:           4
        .value_kind:     by_value
      - .actual_access:  read_only
        .address_space:  global
        .offset:         72
        .size:           8
        .value_kind:     global_buffer
      - .actual_access:  read_only
        .address_space:  global
        .offset:         80
        .size:           8
        .value_kind:     global_buffer
      - .actual_access:  read_only
        .address_space:  global
        .offset:         88
        .size:           8
        .value_kind:     global_buffer
      - .actual_access:  write_only
        .address_space:  global
        .offset:         96
        .size:           8
        .value_kind:     global_buffer
    .group_segment_fixed_size: 0
    .kernarg_segment_align: 8
    .kernarg_segment_size: 104
    .language:       OpenCL C
    .language_version:
      - 2
      - 0
    .max_flat_workgroup_size: 170
    .name:           fft_rtc_fwd_len2040_factors_17_4_3_10_wgs_170_tpt_170_halfLds_sp_op_CI_CI_unitstride_sbrr_dirReg
    .private_segment_fixed_size: 0
    .sgpr_count:     100
    .sgpr_spill_count: 0
    .symbol:         fft_rtc_fwd_len2040_factors_17_4_3_10_wgs_170_tpt_170_halfLds_sp_op_CI_CI_unitstride_sbrr_dirReg.kd
    .uniform_work_group_size: 1
    .uses_dynamic_stack: false
    .vgpr_count:     138
    .vgpr_spill_count: 0
    .wavefront_size: 64
amdhsa.target:   amdgcn-amd-amdhsa--gfx950
amdhsa.version:
  - 1
  - 2
...

	.end_amdgpu_metadata
